;; amdgpu-corpus repo=pytorch/pytorch kind=compiled arch=gfx906 opt=O3
	.amdgcn_target "amdgcn-amd-amdhsa--gfx906"
	.amdhsa_code_object_version 6
	.text
	.p2align	2                               ; -- Begin function _ZN2at6native25elementwise_kernel_helperILb0EZZZNS0_12_GLOBAL__N_121bessel_y0_kernel_cudaERNS_18TensorIteratorBaseEENKUlvE_clEvENKUlvE_clEvEUldE_NS0_6memory8policies11unroll_baseILi256ESt5arrayIPcLm2EE23TrivialOffsetCalculatorILi1EjESF_NS8_15LoadWithoutCastENS8_16StoreWithoutCastELi4ELi1EEEEEvT0_T1_
	.type	_ZN2at6native25elementwise_kernel_helperILb0EZZZNS0_12_GLOBAL__N_121bessel_y0_kernel_cudaERNS_18TensorIteratorBaseEENKUlvE_clEvENKUlvE_clEvEUldE_NS0_6memory8policies11unroll_baseILi256ESt5arrayIPcLm2EE23TrivialOffsetCalculatorILi1EjESF_NS8_15LoadWithoutCastENS8_16StoreWithoutCastELi4ELi1EEEEEvT0_T1_,@function
_ZN2at6native25elementwise_kernel_helperILb0EZZZNS0_12_GLOBAL__N_121bessel_y0_kernel_cudaERNS_18TensorIteratorBaseEENKUlvE_clEvENKUlvE_clEvEUldE_NS0_6memory8policies11unroll_baseILi256ESt5arrayIPcLm2EE23TrivialOffsetCalculatorILi1EjESF_NS8_15LoadWithoutCastENS8_16StoreWithoutCastELi4ELi1EEEEEvT0_T1_: ; @_ZN2at6native25elementwise_kernel_helperILb0EZZZNS0_12_GLOBAL__N_121bessel_y0_kernel_cudaERNS_18TensorIteratorBaseEENKUlvE_clEvENKUlvE_clEvEUldE_NS0_6memory8policies11unroll_baseILi256ESt5arrayIPcLm2EE23TrivialOffsetCalculatorILi1EjESF_NS8_15LoadWithoutCastENS8_16StoreWithoutCastELi4ELi1EEEEEvT0_T1_
; %bb.0:
	s_waitcnt vmcnt(0) expcnt(0) lgkmcnt(0)
	v_and_b32_e32 v32, 0x3ff, v31
	s_lshl_b32 s42, s12, 10
	v_mov_b32_e32 v16, 0
	v_mov_b32_e32 v18, 0
	v_cmp_lt_i32_e64 s[4:5], v32, v4
	v_mov_b32_e32 v17, 0
	v_or_b32_e32 v5, s42, v32
	v_mov_b32_e32 v19, 0
	v_mov_b32_e32 v10, v32
	s_and_saveexec_b64 s[6:7], s[4:5]
	s_cbranch_execz .LBB0_2
; %bb.1:
	v_mov_b32_e32 v6, 0
	v_lshlrev_b64 v[6:7], 3, v[5:6]
	v_add_u32_e32 v10, 0x100, v32
	v_add_co_u32_e32 v6, vcc, v2, v6
	v_addc_co_u32_e32 v7, vcc, v3, v7, vcc
	flat_load_dwordx2 v[18:19], v[6:7]
.LBB0_2:
	s_or_b64 exec, exec, s[6:7]
	v_cmp_lt_i32_e32 vcc, v10, v4
	s_and_saveexec_b64 s[6:7], vcc
	s_cbranch_execz .LBB0_4
; %bb.3:
	v_add_u32_e32 v6, s42, v10
	v_mov_b32_e32 v7, 0
	v_lshlrev_b64 v[6:7], 3, v[6:7]
	v_add_u32_e32 v10, 0x100, v10
	v_add_co_u32_e32 v6, vcc, v2, v6
	v_addc_co_u32_e32 v7, vcc, v3, v7, vcc
	flat_load_dwordx2 v[16:17], v[6:7]
.LBB0_4:
	s_or_b64 exec, exec, s[6:7]
	v_mov_b32_e32 v6, 0
	v_mov_b32_e32 v8, 0
	;; [unrolled: 1-line block ×4, first 2 shown]
	v_cmp_lt_i32_e32 vcc, v10, v4
	s_and_saveexec_b64 s[6:7], vcc
	s_cbranch_execz .LBB0_6
; %bb.5:
	v_add_u32_e32 v8, s42, v10
	v_mov_b32_e32 v9, 0
	v_lshlrev_b64 v[8:9], 3, v[8:9]
	v_add_u32_e32 v10, 0x100, v10
	v_add_co_u32_e32 v8, vcc, v2, v8
	v_addc_co_u32_e32 v9, vcc, v3, v9, vcc
	flat_load_dwordx2 v[8:9], v[8:9]
.LBB0_6:
	s_or_b64 exec, exec, s[6:7]
	v_cmp_lt_i32_e32 vcc, v10, v4
	s_and_saveexec_b64 s[6:7], vcc
	s_cbranch_execz .LBB0_8
; %bb.7:
	v_add_u32_e32 v6, s42, v10
	v_mov_b32_e32 v7, 0
	v_lshlrev_b64 v[6:7], 3, v[6:7]
	v_add_co_u32_e32 v2, vcc, v2, v6
	v_addc_co_u32_e32 v3, vcc, v3, v7, vcc
	flat_load_dwordx2 v[6:7], v[2:3]
.LBB0_8:
	s_or_b64 exec, exec, s[6:7]
	v_mov_b32_e32 v2, 0
	v_mov_b32_e32 v3, v2
	;; [unrolled: 1-line block ×8, first 2 shown]
	s_and_saveexec_b64 s[8:9], s[4:5]
	s_cbranch_execz .LBB0_30
; %bb.9:
	s_mov_b32 s6, 0
	s_mov_b32 s7, 0x40140000
	s_waitcnt vmcnt(0) lgkmcnt(0)
	v_cmp_ge_f64_e32 vcc, s[6:7], v[18:19]
                                        ; implicit-def: $vgpr2_vgpr3
	s_and_saveexec_b64 s[6:7], vcc
	s_xor_b64 s[6:7], exec, s[6:7]
	s_cbranch_execz .LBB0_19
; %bb.10:
	v_cmp_neq_f64_e32 vcc, 0, v[18:19]
	v_mov_b32_e32 v2, 0
	v_mov_b32_e32 v3, 0xfff00000
	s_and_saveexec_b64 s[10:11], vcc
	s_cbranch_execz .LBB0_18
; %bb.11:
	v_cmp_ngt_f64_e32 vcc, 0, v[18:19]
	v_mov_b32_e32 v2, 0
	v_mov_b32_e32 v3, 0x7ff80000
	s_and_saveexec_b64 s[12:13], vcc
	s_cbranch_execz .LBB0_17
; %bb.12:
	v_mul_f64 v[2:3], v[18:19], v[18:19]
	s_mov_b32 s14, 0x88e368f1
	s_mov_b32 s15, 0x3ee4f8b5
	v_cmp_ngt_f64_e32 vcc, s[14:15], v[18:19]
                                        ; implicit-def: $vgpr10_vgpr11
	v_mul_f64 v[12:13], v[2:3], 0
	s_and_saveexec_b64 s[14:15], vcc
	s_xor_b64 s[14:15], exec, s[14:15]
	s_cbranch_execz .LBB0_14
; %bb.13:
	s_mov_b32 s16, 0xa696b78c
	s_mov_b32 s17, 0x407f3902
	v_add_f64 v[10:11], v[12:13], s[16:17]
	s_mov_b32 s16, 0x36a21a67
	s_mov_b32 s17, 0x410536cb
	s_mov_b32 s20, 0x9444914
	s_mov_b32 s21, 0x4204d5b0
	s_mov_b32 s18, 0xc772990d
	s_mov_b32 s19, 0x427c7751
	s_mov_b32 s22, 0x8c9748e9
	v_fma_f64 v[10:11], v[2:3], v[10:11], s[16:17]
	s_mov_b32 s16, 0x2eac0634
	s_mov_b32 s17, 0x41871934
	;; [unrolled: 1-line block ×3, first 2 shown]
	v_fma_f64 v[10:11], v[2:3], v[10:11], s[16:17]
	s_mov_b32 s16, 0xad1c8325
	s_mov_b32 s17, 0xc1f1dc53
	v_add_f64 v[14:15], v[12:13], s[16:17]
	s_mov_b32 s16, 0xe0d900f7
	s_mov_b32 s17, 0xc2ec5614
	v_fma_f64 v[10:11], v[2:3], v[10:11], s[20:21]
	s_mov_b32 s20, 0x72182e46
	s_mov_b32 s21, 0x427ebeb3
	v_fma_f64 v[14:15], v[2:3], v[14:15], s[18:19]
	s_mov_b32 s18, 0x80462bbb
	s_mov_b32 s19, 0xc01721fb
	v_add_f64 v[20:21], v[2:3], s[18:19]
	s_mov_b32 s18, 0x69ff5fb4
	v_fma_f64 v[10:11], v[2:3], v[10:11], s[20:21]
	s_mov_b32 s20, 0xa621dd6f
	s_mov_b32 s21, 0xc03e78a4
	v_add_f64 v[22:23], v[2:3], s[20:21]
	v_fma_f64 v[14:15], v[2:3], v[14:15], s[16:17]
	s_mov_b32 s16, 0x7e7b2e9c
	s_mov_b32 s17, 0x435c4141
	;; [unrolled: 1-line block ×3, first 2 shown]
	v_fma_f64 v[10:11], v[2:3], v[10:11], s[22:23]
	v_mul_f64 v[20:21], v[20:21], v[22:23]
	v_fma_f64 v[14:15], v[2:3], v[14:15], s[18:19]
	v_fma_f64 v[10:11], v[2:3], v[10:11], s[16:17]
	s_mov_b32 s16, 0xc7b662cc
	s_mov_b32 s17, 0x43b7be34
	v_mul_f64 v[14:15], v[20:21], v[14:15]
	v_fma_f64 v[10:11], v[2:3], v[10:11], s[16:17]
	v_div_scale_f64 v[20:21], s[16:17], v[10:11], v[10:11], v[14:15]
	v_div_scale_f64 v[26:27], vcc, v[14:15], v[10:11], v[14:15]
	v_rcp_f64_e32 v[22:23], v[20:21]
	v_fma_f64 v[24:25], -v[20:21], v[22:23], 1.0
	v_fma_f64 v[22:23], v[22:23], v[24:25], v[22:23]
	v_fma_f64 v[24:25], -v[20:21], v[22:23], 1.0
	v_fma_f64 v[22:23], v[22:23], v[24:25], v[22:23]
	v_mul_f64 v[24:25], v[26:27], v[22:23]
	v_fma_f64 v[20:21], -v[20:21], v[24:25], v[26:27]
	v_div_fmas_f64 v[20:21], v[20:21], v[22:23], v[24:25]
	v_div_fixup_f64 v[10:11], v[20:21], v[10:11], v[14:15]
.LBB0_14:
	s_andn2_saveexec_b64 s[14:15], s[14:15]
	s_cbranch_execz .LBB0_16
; %bb.15:
	s_mov_b32 s16, 0
	s_mov_b32 s17, 0xbfd00000
	v_fma_f64 v[10:11], v[2:3], s[16:17], 1.0
.LBB0_16:
	s_or_b64 exec, exec, s[14:15]
	v_frexp_mant_f64_e32 v[14:15], v[18:19]
	s_mov_b32 s15, 0x3fe55555
	s_mov_b32 s14, 0x55555555
	;; [unrolled: 1-line block ×7, first 2 shown]
	v_cmp_gt_f64_e32 vcc, s[14:15], v[14:15]
	s_mov_b32 s25, 0xc16bf81f
	s_mov_b32 s26, 0xf0284cdd
	;; [unrolled: 1-line block ×7, first 2 shown]
	v_cndmask_b32_e64 v20, 0, 1, vcc
	v_ldexp_f64 v[14:15], v[14:15], v20
	s_mov_b32 s21, 0x42d3ea72
	s_mov_b32 s18, 0xd1d8cc02
	;; [unrolled: 1-line block ×3, first 2 shown]
	v_add_f64 v[20:21], v[14:15], 1.0
	v_add_f64 v[26:27], v[14:15], -1.0
	v_rcp_f64_e32 v[22:23], v[20:21]
	v_add_f64 v[28:29], v[20:21], -1.0
	v_add_f64 v[14:15], v[14:15], -v[28:29]
	v_fma_f64 v[24:25], -v[20:21], v[22:23], 1.0
	v_fma_f64 v[22:23], v[24:25], v[22:23], v[22:23]
	v_fma_f64 v[24:25], -v[20:21], v[22:23], 1.0
	v_fma_f64 v[22:23], v[24:25], v[22:23], v[22:23]
	v_mul_f64 v[24:25], v[26:27], v[22:23]
	v_mul_f64 v[30:31], v[20:21], v[24:25]
	v_fma_f64 v[20:21], v[24:25], v[20:21], -v[30:31]
	v_fma_f64 v[14:15], v[24:25], v[14:15], v[20:21]
	v_add_f64 v[20:21], v[30:31], v[14:15]
	v_add_f64 v[28:29], v[26:27], -v[20:21]
	v_add_f64 v[30:31], v[20:21], -v[30:31]
	;; [unrolled: 1-line block ×5, first 2 shown]
	v_mov_b32_e32 v26, 0x6b47b09a
	v_mov_b32_e32 v27, 0x3fc38538
	v_add_f64 v[14:15], v[14:15], v[20:21]
	v_add_f64 v[14:15], v[28:29], v[14:15]
	;; [unrolled: 1-line block ×3, first 2 shown]
	s_mov_b32 s22, 0x9b27acf1
	s_mov_b32 s23, 0x3fd24924
	v_mul_f64 v[14:15], v[22:23], v[14:15]
	v_fma_f64 v[28:29], v[2:3], v[28:29], s[24:25]
	s_mov_b32 s24, 0x5164d101
	s_mov_b32 s25, 0x41b00763
	v_add_f64 v[20:21], v[24:25], v[14:15]
	v_fma_f64 v[28:29], v[2:3], v[28:29], s[26:27]
	v_mul_f64 v[22:23], v[20:21], v[20:21]
	v_fma_f64 v[26:27], v[22:23], s[16:17], v[26:27]
	s_mov_b32 s16, 0xd7f4df2e
	s_mov_b32 s17, 0x3fc7474d
	v_mul_f64 v[30:31], v[20:21], v[22:23]
	v_fma_f64 v[26:27], v[22:23], v[26:27], s[16:17]
	s_mov_b32 s16, 0x16291751
	s_mov_b32 s17, 0x3fcc71c0
	v_fma_f64 v[26:27], v[22:23], v[26:27], s[16:17]
	s_mov_b32 s16, 0x660b4003
	s_mov_b32 s17, 0x4363a94b
	;; [unrolled: 3-line block ×3, first 2 shown]
	v_add_f64 v[12:13], v[12:13], s[22:23]
	s_mov_b32 s22, 0x998ef7b6
	s_mov_b32 s23, 0x3fd99999
	v_fma_f64 v[26:27], v[22:23], v[26:27], s[22:23]
	s_mov_b32 s22, 0xa907bc0c
	s_mov_b32 s23, 0x41231b76
	v_fma_f64 v[12:13], v[2:3], v[12:13], s[22:23]
	;; [unrolled: 3-line block ×3, first 2 shown]
	v_fma_f64 v[26:27], v[2:3], v[28:29], s[28:29]
	v_ldexp_f64 v[28:29], v[20:21], 1
	v_fma_f64 v[12:13], v[2:3], v[12:13], s[24:25]
	s_mov_b32 s14, 0x2b8664bc
	s_mov_b32 s15, 0x42341ddb
	v_add_f64 v[20:21], v[20:21], -v[24:25]
	s_mov_b32 s24, 0xdfeb596d
	v_mul_f64 v[22:23], v[30:31], v[22:23]
	v_frexp_exp_i32_f64_e32 v30, v[18:19]
	v_fma_f64 v[18:19], v[2:3], v[26:27], s[20:21]
	v_fma_f64 v[12:13], v[2:3], v[12:13], s[14:15]
	s_mov_b32 s14, 0xfefa39ef
	s_mov_b32 s15, 0x3fe62e42
	v_add_f64 v[14:15], v[14:15], -v[20:21]
	s_mov_b32 s25, 0x43268910
	v_add_f64 v[24:25], v[28:29], v[22:23]
	v_subbrev_co_u32_e32 v26, vcc, 0, v30, vcc
	v_cvt_f64_i32_e32 v[26:27], v26
	v_fma_f64 v[12:13], v[2:3], v[12:13], s[22:23]
	v_fma_f64 v[18:19], v[2:3], v[18:19], s[18:19]
	v_ldexp_f64 v[14:15], v[14:15], 1
	v_mul_f64 v[30:31], v[26:27], s[14:15]
	v_add_f64 v[20:21], v[24:25], -v[28:29]
	s_mov_b32 s18, 0xbcf9b5d0
	s_mov_b32 s19, 0x438bd25f
	v_fma_f64 v[12:13], v[2:3], v[12:13], s[24:25]
	v_fma_f64 v[18:19], v[2:3], v[18:19], s[16:17]
	v_fma_f64 v[28:29], v[26:27], s[14:15], -v[30:31]
	v_add_f64 v[20:21], v[22:23], -v[20:21]
	s_mov_b32 s14, 0x5906367b
	s_mov_b32 s15, 0xc3506d4b
	v_fma_f64 v[12:13], v[2:3], v[12:13], s[18:19]
	v_fma_f64 v[2:3], v[2:3], v[18:19], s[14:15]
	s_mov_b32 s14, 0x3b39803f
	s_mov_b32 s15, 0x3c7abc9e
	v_fma_f64 v[18:19], v[26:27], s[14:15], v[28:29]
	v_add_f64 v[14:15], v[14:15], v[20:21]
	v_div_scale_f64 v[20:21], s[14:15], v[12:13], v[12:13], v[2:3]
	s_mov_b32 s14, 0x6dc9c883
	v_add_f64 v[22:23], v[30:31], v[18:19]
	v_add_f64 v[26:27], v[24:25], v[14:15]
	s_mov_b32 s15, 0x3fe45f30
	v_add_f64 v[30:31], v[22:23], -v[30:31]
	v_add_f64 v[28:29], v[22:23], v[26:27]
	v_add_f64 v[24:25], v[26:27], -v[24:25]
	v_rcp_f64_e32 v[33:34], v[20:21]
	v_add_f64 v[18:19], v[18:19], -v[30:31]
	v_add_f64 v[35:36], v[28:29], -v[22:23]
	;; [unrolled: 1-line block ×5, first 2 shown]
	v_add_f64 v[30:31], v[18:19], v[14:15]
	v_fma_f64 v[48:49], -v[20:21], v[33:34], 1.0
	v_add_f64 v[22:23], v[22:23], -v[37:38]
	v_add_f64 v[35:36], v[30:31], -v[18:19]
	v_fma_f64 v[26:27], v[33:34], v[48:49], v[33:34]
	v_div_scale_f64 v[33:34], vcc, v[2:3], v[12:13], v[2:3]
	v_add_f64 v[22:23], v[24:25], v[22:23]
	v_add_f64 v[14:15], v[14:15], -v[35:36]
	v_fma_f64 v[24:25], -v[20:21], v[26:27], 1.0
	v_add_f64 v[22:23], v[30:31], v[22:23]
	v_fma_f64 v[24:25], v[26:27], v[24:25], v[26:27]
	v_add_f64 v[26:27], v[30:31], -v[35:36]
	v_add_f64 v[30:31], v[28:29], v[22:23]
	v_mul_f64 v[37:38], v[33:34], v[24:25]
	v_add_f64 v[18:19], v[18:19], -v[26:27]
	v_add_f64 v[26:27], v[30:31], -v[28:29]
	v_fma_f64 v[20:21], -v[20:21], v[37:38], v[33:34]
	v_add_f64 v[14:15], v[14:15], v[18:19]
	v_add_f64 v[18:19], v[22:23], -v[26:27]
	v_div_fmas_f64 v[20:21], v[20:21], v[24:25], v[37:38]
	v_add_f64 v[14:15], v[14:15], v[18:19]
	v_add_f64 v[14:15], v[30:31], v[14:15]
	v_div_fixup_f64 v[2:3], v[20:21], v[12:13], v[2:3]
	v_mul_f64 v[12:13], v[14:15], s[14:15]
	v_fma_f64 v[2:3], v[12:13], v[10:11], v[2:3]
.LBB0_17:
	s_or_b64 exec, exec, s[12:13]
.LBB0_18:
	s_or_b64 exec, exec, s[10:11]
                                        ; implicit-def: $vgpr18_vgpr19
.LBB0_19:
	s_andn2_saveexec_b64 s[10:11], s[6:7]
	s_cbranch_execz .LBB0_29
; %bb.20:
	s_mov_b32 s15, 0xbfe921fb
	s_mov_b32 s14, 0x54442d18
	v_add_f64 v[2:3], v[18:19], s[14:15]
	s_mov_b32 s6, 0
	s_mov_b32 s7, 0x41d00000
                                        ; implicit-def: $vgpr29
                                        ; implicit-def: $vgpr14_vgpr15
                                        ; implicit-def: $vgpr20_vgpr21
	v_trig_preop_f64 v[26:27], |v[2:3]|, 0
	v_trig_preop_f64 v[24:25], |v[2:3]|, 1
	v_trig_preop_f64 v[22:23], |v[2:3]|, 2
	v_cmp_nlt_f64_e64 s[12:13], |v[2:3]|, s[6:7]
	s_and_saveexec_b64 s[6:7], s[12:13]
	s_xor_b64 s[16:17], exec, s[6:7]
	s_cbranch_execz .LBB0_22
; %bb.21:
	s_mov_b32 s6, 0
	s_mov_b32 s7, 0x7b000000
	s_movk_i32 s15, 0xff80
	v_ldexp_f64 v[10:11], |v[2:3]|, s15
	v_cmp_ge_f64_e64 vcc, |v[2:3]|, s[6:7]
	v_and_b32_e32 v12, 0x7fffffff, v3
	s_mov_b32 s6, 0
	s_mov_b32 s7, 0x7ff00000
	v_mov_b32_e32 v39, 0x40100000
	v_mov_b32_e32 v50, 0
	s_mov_b32 s15, 0x3ff921fb
	v_cndmask_b32_e32 v11, v12, v11, vcc
	v_cndmask_b32_e32 v10, v2, v10, vcc
	v_mul_f64 v[12:13], v[26:27], v[10:11]
	v_mul_f64 v[14:15], v[24:25], v[10:11]
	;; [unrolled: 1-line block ×3, first 2 shown]
	v_fma_f64 v[20:21], v[26:27], v[10:11], -v[12:13]
	v_fma_f64 v[37:38], v[24:25], v[10:11], -v[14:15]
	;; [unrolled: 1-line block ×3, first 2 shown]
	v_add_f64 v[28:29], v[14:15], v[20:21]
	v_add_f64 v[30:31], v[28:29], -v[14:15]
	v_add_f64 v[48:49], v[12:13], v[28:29]
	v_add_f64 v[33:34], v[28:29], -v[30:31]
	v_add_f64 v[20:21], v[20:21], -v[30:31]
	v_add_f64 v[30:31], v[35:36], v[37:38]
	v_add_f64 v[12:13], v[48:49], -v[12:13]
	v_add_f64 v[14:15], v[14:15], -v[33:34]
	v_ldexp_f64 v[33:34], v[48:49], -2
	v_add_f64 v[52:53], v[30:31], -v[35:36]
	v_add_f64 v[12:13], v[28:29], -v[12:13]
	v_add_f64 v[14:15], v[20:21], v[14:15]
	v_fract_f64_e32 v[20:21], v[33:34]
	v_cmp_neq_f64_e64 vcc, |v[33:34]|, s[6:7]
	v_add_f64 v[37:38], v[37:38], -v[52:53]
	v_add_f64 v[28:29], v[30:31], v[14:15]
	v_ldexp_f64 v[20:21], v[20:21], 2
	v_add_f64 v[33:34], v[12:13], v[28:29]
	v_cndmask_b32_e32 v21, 0, v21, vcc
	v_cndmask_b32_e32 v20, 0, v20, vcc
	v_add_f64 v[54:55], v[28:29], -v[30:31]
	v_add_f64 v[48:49], v[33:34], v[20:21]
	v_add_f64 v[12:13], v[33:34], -v[12:13]
	v_add_f64 v[64:65], v[28:29], -v[54:55]
	v_add_f64 v[14:15], v[14:15], -v[54:55]
	v_cmp_gt_f64_e32 vcc, 0, v[48:49]
	v_add_f64 v[48:49], v[30:31], -v[52:53]
	v_add_f64 v[12:13], v[28:29], -v[12:13]
	v_add_f64 v[30:31], v[30:31], -v[64:65]
	v_cndmask_b32_e32 v51, 0, v39, vcc
	v_add_f64 v[20:21], v[20:21], v[50:51]
	v_add_f64 v[48:49], v[35:36], -v[48:49]
	v_add_f64 v[14:15], v[14:15], v[30:31]
	v_add_f64 v[66:67], v[33:34], v[20:21]
	;; [unrolled: 1-line block ×3, first 2 shown]
	v_cvt_i32_f64_e32 v39, v[66:67]
	v_add_f64 v[14:15], v[37:38], v[14:15]
	v_cvt_f64_i32_e32 v[51:52], v39
	v_add_f64 v[20:21], v[20:21], -v[51:52]
	v_add_f64 v[10:11], v[10:11], v[14:15]
	v_add_f64 v[30:31], v[33:34], v[20:21]
	v_add_f64 v[10:11], v[12:13], v[10:11]
	v_add_f64 v[14:15], v[30:31], -v[20:21]
	v_cmp_le_f64_e32 vcc, 0.5, v[30:31]
	v_add_f64 v[12:13], v[33:34], -v[14:15]
	v_mov_b32_e32 v14, 0x3ff00000
	v_cndmask_b32_e32 v51, 0, v14, vcc
	v_addc_co_u32_e64 v29, s[6:7], 0, v39, vcc
	s_mov_b32 s6, 0x33145c07
	s_mov_b32 s7, 0x3c91a626
	v_add_f64 v[10:11], v[10:11], v[12:13]
	v_add_f64 v[12:13], v[30:31], -v[50:51]
	v_add_f64 v[14:15], v[12:13], v[10:11]
	v_mul_f64 v[20:21], v[14:15], s[14:15]
	v_add_f64 v[12:13], v[14:15], -v[12:13]
	v_fma_f64 v[30:31], v[14:15], s[14:15], -v[20:21]
	v_add_f64 v[10:11], v[10:11], -v[12:13]
	v_fma_f64 v[12:13], v[14:15], s[6:7], v[30:31]
	v_fma_f64 v[10:11], v[10:11], s[14:15], v[12:13]
	v_add_f64 v[14:15], v[20:21], v[10:11]
	v_add_f64 v[12:13], v[14:15], -v[20:21]
	v_add_f64 v[20:21], v[10:11], -v[12:13]
	s_andn2_saveexec_b64 s[6:7], s[16:17]
	s_cbranch_execz .LBB0_24
	s_branch .LBB0_23
.LBB0_22:
	s_andn2_saveexec_b64 s[6:7], s[16:17]
	s_cbranch_execz .LBB0_24
.LBB0_23:
	s_mov_b32 s14, 0x6dc9c883
	s_mov_b32 s15, 0x3fe45f30
	v_mul_f64 v[10:11], |v[2:3]|, s[14:15]
	s_mov_b32 s14, 0x54442d18
	s_mov_b32 s15, 0xbff921fb
	s_mov_b32 s17, 0xbc91a626
	s_mov_b32 s16, 0x33145c00
	v_rndne_f64_e32 v[10:11], v[10:11]
	v_fma_f64 v[12:13], v[10:11], s[14:15], |v[2:3]|
	v_mul_f64 v[14:15], v[10:11], s[16:17]
	s_mov_b32 s14, 0x252049c0
	s_mov_b32 s15, 0xb97b839a
	v_add_f64 v[20:21], v[12:13], v[14:15]
	v_add_f64 v[28:29], v[12:13], -v[20:21]
	v_fma_f64 v[12:13], v[10:11], s[16:17], v[12:13]
	s_mov_b32 s17, 0x3c91a626
	v_add_f64 v[28:29], v[28:29], v[14:15]
	v_add_f64 v[20:21], v[20:21], -v[12:13]
	v_fma_f64 v[14:15], v[10:11], s[16:17], v[14:15]
	v_add_f64 v[20:21], v[20:21], v[28:29]
	v_cvt_i32_f64_e32 v29, v[10:11]
	v_add_f64 v[14:15], v[20:21], -v[14:15]
	v_fma_f64 v[20:21], v[10:11], s[14:15], v[14:15]
	v_add_f64 v[14:15], v[12:13], v[20:21]
	v_add_f64 v[12:13], v[14:15], -v[12:13]
	v_add_f64 v[20:21], v[20:21], -v[12:13]
.LBB0_24:
	s_or_b64 exec, exec, s[6:7]
                                        ; implicit-def: $vgpr28
                                        ; implicit-def: $vgpr10_vgpr11
                                        ; implicit-def: $vgpr12_vgpr13
	s_and_saveexec_b64 s[6:7], s[12:13]
	s_xor_b64 s[12:13], exec, s[6:7]
	s_cbranch_execz .LBB0_26
; %bb.25:
	s_mov_b32 s6, 0
	s_mov_b32 s7, 0x7b000000
	v_cmp_ge_f64_e64 vcc, |v[2:3]|, s[6:7]
	s_movk_i32 s6, 0xff80
	v_ldexp_f64 v[10:11], |v[2:3]|, s6
	v_and_b32_e32 v12, 0x7fffffff, v3
	s_mov_b32 s6, 0
	s_mov_b32 s7, 0x7ff00000
	;; [unrolled: 1-line block ×4, first 2 shown]
	v_cndmask_b32_e32 v11, v12, v11, vcc
	v_cndmask_b32_e32 v10, v2, v10, vcc
	v_mul_f64 v[30:31], v[26:27], v[10:11]
	v_mul_f64 v[12:13], v[24:25], v[10:11]
	v_fma_f64 v[26:27], v[26:27], v[10:11], -v[30:31]
	v_add_f64 v[33:34], v[12:13], v[26:27]
	v_add_f64 v[50:51], v[33:34], -v[12:13]
	v_add_f64 v[35:36], v[30:31], v[33:34]
	v_add_f64 v[26:27], v[26:27], -v[50:51]
	v_add_f64 v[50:51], v[33:34], -v[50:51]
	v_ldexp_f64 v[37:38], v[35:36], -2
	v_add_f64 v[30:31], v[35:36], -v[30:31]
	v_add_f64 v[50:51], v[12:13], -v[50:51]
	v_fma_f64 v[12:13], v[24:25], v[10:11], -v[12:13]
	v_mul_f64 v[24:25], v[22:23], v[10:11]
	v_fract_f64_e32 v[48:49], v[37:38]
	v_add_f64 v[30:31], v[33:34], -v[30:31]
	v_cmp_neq_f64_e64 vcc, |v[37:38]|, s[6:7]
	v_add_f64 v[26:27], v[26:27], v[50:51]
	v_add_f64 v[50:51], v[24:25], v[12:13]
	v_fma_f64 v[10:11], v[22:23], v[10:11], -v[24:25]
	v_add_f64 v[52:53], v[50:51], v[26:27]
	v_add_f64 v[35:36], v[52:53], -v[50:51]
	v_add_f64 v[33:34], v[30:31], v[52:53]
	v_add_f64 v[26:27], v[26:27], -v[35:36]
	v_add_f64 v[35:36], v[52:53], -v[35:36]
	;; [unrolled: 1-line block ×5, first 2 shown]
	v_add_f64 v[26:27], v[26:27], v[35:36]
	v_add_f64 v[35:36], v[50:51], -v[24:25]
	v_add_f64 v[12:13], v[12:13], -v[35:36]
	;; [unrolled: 1-line block ×4, first 2 shown]
	v_add_f64 v[12:13], v[12:13], v[35:36]
	v_add_f64 v[12:13], v[12:13], v[26:27]
	v_add_f64 v[10:11], v[10:11], v[12:13]
	v_ldexp_f64 v[12:13], v[48:49], 2
	v_add_f64 v[10:11], v[30:31], v[10:11]
	v_cndmask_b32_e32 v13, 0, v13, vcc
	v_cndmask_b32_e32 v12, 0, v12, vcc
	v_add_f64 v[22:23], v[33:34], v[12:13]
	v_cmp_gt_f64_e32 vcc, 0, v[22:23]
	v_mov_b32_e32 v22, 0x40100000
	v_cndmask_b32_e32 v23, 0, v22, vcc
	v_mov_b32_e32 v22, 0
	v_add_f64 v[12:13], v[12:13], v[22:23]
	v_add_f64 v[23:24], v[33:34], v[12:13]
	v_cvt_i32_f64_e32 v26, v[23:24]
	v_cvt_f64_i32_e32 v[23:24], v26
	v_add_f64 v[12:13], v[12:13], -v[23:24]
	v_add_f64 v[24:25], v[33:34], v[12:13]
	v_add_f64 v[12:13], v[24:25], -v[12:13]
	v_cmp_le_f64_e32 vcc, 0.5, v[24:25]
	v_add_f64 v[12:13], v[33:34], -v[12:13]
	v_addc_co_u32_e64 v28, s[6:7], 0, v26, vcc
	s_mov_b32 s6, 0x54442d18
	s_mov_b32 s7, 0x3ff921fb
	v_add_f64 v[10:11], v[10:11], v[12:13]
	v_mov_b32_e32 v12, 0x3ff00000
	v_cndmask_b32_e32 v23, 0, v12, vcc
	v_add_f64 v[12:13], v[24:25], -v[22:23]
	v_add_f64 v[22:23], v[12:13], v[10:11]
	v_add_f64 v[12:13], v[22:23], -v[12:13]
	v_add_f64 v[10:11], v[10:11], -v[12:13]
	v_mul_f64 v[12:13], v[22:23], s[6:7]
	v_fma_f64 v[24:25], v[22:23], s[6:7], -v[12:13]
	v_fma_f64 v[22:23], v[22:23], s[14:15], v[24:25]
	v_fma_f64 v[22:23], v[10:11], s[6:7], v[22:23]
	v_add_f64 v[10:11], v[12:13], v[22:23]
	v_add_f64 v[12:13], v[10:11], -v[12:13]
	v_add_f64 v[12:13], v[22:23], -v[12:13]
	s_andn2_saveexec_b64 s[6:7], s[12:13]
	s_cbranch_execnz .LBB0_27
	s_branch .LBB0_28
.LBB0_26:
	s_andn2_saveexec_b64 s[6:7], s[12:13]
	s_cbranch_execz .LBB0_28
.LBB0_27:
	s_mov_b32 s12, 0x6dc9c883
	s_mov_b32 s13, 0x3fe45f30
	v_mul_f64 v[10:11], |v[2:3]|, s[12:13]
	s_mov_b32 s12, 0x54442d18
	s_mov_b32 s13, 0xbff921fb
	;; [unrolled: 1-line block ×4, first 2 shown]
	v_rndne_f64_e32 v[22:23], v[10:11]
	v_fma_f64 v[10:11], v[22:23], s[12:13], |v[2:3]|
	v_mul_f64 v[12:13], v[22:23], s[14:15]
	s_mov_b32 s12, 0x252049c0
	s_mov_b32 s13, 0xb97b839a
	v_cvt_i32_f64_e32 v28, v[22:23]
	v_fma_f64 v[30:31], v[22:23], s[14:15], v[10:11]
	v_add_f64 v[24:25], v[10:11], v[12:13]
	s_mov_b32 s15, 0x3c91a626
	v_add_f64 v[26:27], v[10:11], -v[24:25]
	v_add_f64 v[24:25], v[24:25], -v[30:31]
	v_add_f64 v[10:11], v[26:27], v[12:13]
	v_fma_f64 v[12:13], v[22:23], s[14:15], v[12:13]
	v_add_f64 v[10:11], v[24:25], v[10:11]
	v_add_f64 v[10:11], v[10:11], -v[12:13]
	v_fma_f64 v[12:13], v[22:23], s[12:13], v[10:11]
	v_add_f64 v[10:11], v[30:31], v[12:13]
	v_add_f64 v[24:25], v[10:11], -v[30:31]
	v_add_f64 v[12:13], v[12:13], -v[24:25]
.LBB0_28:
	s_or_b64 exec, exec, s[6:7]
	v_mul_f64 v[22:23], v[18:19], v[18:19]
	s_mov_b32 s6, 0
	s_mov_b32 s7, 0x40390000
	;; [unrolled: 1-line block ×7, first 2 shown]
	v_div_scale_f64 v[24:25], s[12:13], v[22:23], v[22:23], s[6:7]
	s_mov_b32 s12, 0x46cc5e42
	s_mov_b32 s13, 0xbda907db
	;; [unrolled: 1-line block ×13, first 2 shown]
	v_mul_f64 v[52:53], v[20:21], 0.5
	v_rcp_f64_e32 v[26:27], v[24:25]
	s_mov_b32 s41, 0xbfc55555
	s_mov_b32 s40, s20
	;; [unrolled: 1-line block ×3, first 2 shown]
	v_mov_b32_e32 v39, 0x7ff80000
	s_mov_b32 s45, 0x40140000
	v_fma_f64 v[30:31], -v[24:25], v[26:27], 1.0
	v_fma_f64 v[26:27], v[26:27], v[30:31], v[26:27]
	v_fma_f64 v[30:31], -v[24:25], v[26:27], 1.0
	v_fma_f64 v[26:27], v[26:27], v[30:31], v[26:27]
	v_div_scale_f64 v[30:31], vcc, s[6:7], v[22:23], s[6:7]
	v_mul_f64 v[33:34], v[30:31], v[26:27]
	v_fma_f64 v[24:25], -v[24:25], v[33:34], v[30:31]
	v_mov_b32_e32 v30, 0x38a5384a
	v_mov_b32_e32 v31, 0xbf874742
	v_div_fmas_f64 v[24:25], v[24:25], v[26:27], v[33:34]
	v_mov_b32_e32 v26, 0xce039737
	v_mov_b32_e32 v27, 0x3f4e4a80
	;; [unrolled: 1-line block ×4, first 2 shown]
	v_div_fixup_f64 v[22:23], v[24:25], v[22:23], s[6:7]
	v_mov_b32_e32 v24, 0x983b6b27
	v_mov_b32_e32 v25, 0x3f4a1d30
	s_mov_b32 s6, 0xb35dd1cf
	s_mov_b32 s7, 0x3fb534b0
	v_fma_f64 v[24:25], v[22:23], 0, v[24:25]
	v_fma_f64 v[26:27], v[22:23], 0, v[26:27]
	v_fma_f64 v[30:31], v[22:23], 0, v[30:31]
	v_fma_f64 v[33:34], v[22:23], 0, v[33:34]
	v_fma_f64 v[24:25], v[22:23], v[24:25], s[6:7]
	s_mov_b32 s6, 0x4e680b98
	s_mov_b32 s7, 0x3ff3d521
	v_fma_f64 v[24:25], v[22:23], v[24:25], s[6:7]
	s_mov_b32 s6, 0xe97a0956
	s_mov_b32 s7, 0x4015c9fb
	v_fma_f64 v[24:25], v[22:23], v[24:25], s[6:7]
	;; [unrolled: 3-line block ×10, first 2 shown]
	s_mov_b32 s6, 0xf50e2c0c
	s_mov_b32 s7, 0xc0338dcf
	v_fma_f64 v[26:27], v[22:23], v[26:27], 1.0
	v_fma_f64 v[30:31], v[22:23], v[30:31], s[6:7]
	s_mov_b32 s6, 0x5a6de8c4
	s_mov_b32 s7, 0xc0574d2f
	v_fma_f64 v[30:31], v[22:23], v[30:31], s[6:7]
	s_mov_b32 s6, 0x20cae8ea
	s_mov_b32 s7, 0xc06635cc
	;; [unrolled: 3-line block ×11, first 2 shown]
	v_fma_f64 v[33:34], v[22:23], v[33:34], s[6:7]
	v_fma_f64 v[22:23], v[22:23], v[24:25], 1.0
	v_div_scale_f64 v[24:25], s[6:7], v[26:27], v[26:27], v[22:23]
	s_mov_b32 s6, 0x9037ab78
	s_mov_b32 s7, 0x3e21eeb6
	v_rcp_f64_e32 v[35:36], v[24:25]
	v_fma_f64 v[37:38], -v[24:25], v[35:36], 1.0
	v_fma_f64 v[35:36], v[35:36], v[37:38], v[35:36]
	v_fma_f64 v[37:38], -v[24:25], v[35:36], 1.0
	v_fma_f64 v[35:36], v[35:36], v[37:38], v[35:36]
	v_div_scale_f64 v[37:38], vcc, v[22:23], v[26:27], v[22:23]
	v_mul_f64 v[48:49], v[37:38], v[35:36]
	v_fma_f64 v[24:25], -v[24:25], v[48:49], v[37:38]
	s_nop 1
	v_div_fmas_f64 v[24:25], v[24:25], v[35:36], v[48:49]
	v_mov_b32_e32 v49, s7
	v_mov_b32_e32 v48, s6
	s_mov_b32 s6, 0xb42fdfa7
	s_mov_b32 s7, 0xbe5ae600
	v_div_fixup_f64 v[22:23], v[24:25], v[26:27], v[22:23]
	v_mul_f64 v[24:25], v[14:15], v[14:15]
	v_mul_f64 v[26:27], v[24:25], 0.5
	v_fma_f64 v[50:51], v[24:25], s[12:13], v[48:49]
	v_add_f64 v[35:36], -v[26:27], 1.0
	v_fma_f64 v[50:51], v[24:25], v[50:51], s[14:15]
	v_add_f64 v[37:38], -v[35:36], 1.0
	v_fma_f64 v[50:51], v[24:25], v[50:51], s[16:17]
	v_add_f64 v[26:27], v[37:38], -v[26:27]
	v_fma_f64 v[50:51], v[24:25], v[50:51], s[18:19]
	v_mul_f64 v[37:38], v[24:25], v[24:25]
	v_fma_f64 v[26:27], v[14:15], -v[20:21], v[26:27]
	v_fma_f64 v[50:51], v[24:25], v[50:51], s[20:21]
	v_fma_f64 v[26:27], v[37:38], v[50:51], v[26:27]
	v_mul_f64 v[50:51], v[14:15], -v[24:25]
	v_add_f64 v[26:27], v[35:36], v[26:27]
	v_mov_b32_e32 v36, s7
	v_mov_b32_e32 v35, s6
	v_fma_f64 v[37:38], v[24:25], s[22:23], v[35:36]
	s_movk_i32 s6, 0x1f8
	v_cmp_class_f64_e64 s[6:7], v[2:3], s6
	v_fma_f64 v[37:38], v[24:25], v[37:38], s[24:25]
	v_fma_f64 v[37:38], v[24:25], v[37:38], s[26:27]
	;; [unrolled: 1-line block ×4, first 2 shown]
	v_fma_f64 v[20:21], v[24:25], v[37:38], -v[20:21]
	v_fma_f64 v[20:21], v[50:51], s[40:41], v[20:21]
	v_add_f64 v[14:15], v[14:15], -v[20:21]
	v_and_b32_e32 v20, 1, v29
	v_cmp_eq_u32_e32 vcc, 0, v20
	v_lshlrev_b32_e32 v20, 30, v29
	v_xor_b32_e32 v20, v20, v3
	v_and_b32_e32 v20, 0x80000000, v20
	v_cndmask_b32_e32 v15, v27, v15, vcc
	v_cndmask_b32_e32 v14, v26, v14, vcc
	v_xor_b32_e32 v15, v15, v20
	v_cndmask_b32_e64 v2, 0, v14, s[6:7]
	v_cndmask_b32_e64 v3, v39, v15, s[6:7]
	v_div_scale_f64 v[14:15], s[46:47], v[18:19], v[18:19], s[44:45]
	v_rcp_f64_e32 v[20:21], v[14:15]
	v_fma_f64 v[24:25], -v[14:15], v[20:21], 1.0
	v_fma_f64 v[20:21], v[20:21], v[24:25], v[20:21]
	v_fma_f64 v[24:25], -v[14:15], v[20:21], 1.0
	v_fma_f64 v[20:21], v[20:21], v[24:25], v[20:21]
	v_div_scale_f64 v[24:25], vcc, s[44:45], v[18:19], s[44:45]
	v_mul_f64 v[26:27], v[24:25], v[20:21]
	v_fma_f64 v[14:15], -v[14:15], v[26:27], v[24:25]
	s_nop 1
	v_div_fmas_f64 v[14:15], v[14:15], v[20:21], v[26:27]
	v_div_fixup_f64 v[14:15], v[14:15], v[18:19], s[44:45]
	v_div_scale_f64 v[20:21], s[44:45], v[33:34], v[33:34], v[30:31]
	v_rcp_f64_e32 v[24:25], v[20:21]
	v_fma_f64 v[26:27], -v[20:21], v[24:25], 1.0
	v_fma_f64 v[24:25], v[24:25], v[26:27], v[24:25]
	v_fma_f64 v[26:27], -v[20:21], v[24:25], 1.0
	v_fma_f64 v[24:25], v[24:25], v[26:27], v[24:25]
	v_div_scale_f64 v[26:27], vcc, v[30:31], v[33:34], v[30:31]
	v_mul_f64 v[37:38], v[26:27], v[24:25]
	v_fma_f64 v[20:21], -v[20:21], v[37:38], v[26:27]
	s_nop 1
	v_div_fmas_f64 v[20:21], v[20:21], v[24:25], v[37:38]
	v_div_fixup_f64 v[20:21], v[20:21], v[33:34], v[30:31]
	v_mul_f64 v[14:15], v[14:15], v[20:21]
	v_mul_f64 v[20:21], v[10:11], v[10:11]
	v_mul_f64 v[24:25], v[20:21], 0.5
	v_fma_f64 v[33:34], v[20:21], s[12:13], v[48:49]
	v_add_f64 v[26:27], -v[24:25], 1.0
	v_fma_f64 v[33:34], v[20:21], v[33:34], s[14:15]
	v_add_f64 v[29:30], -v[26:27], 1.0
	v_fma_f64 v[33:34], v[20:21], v[33:34], s[16:17]
	v_add_f64 v[24:25], v[29:30], -v[24:25]
	v_fma_f64 v[33:34], v[20:21], v[33:34], s[18:19]
	v_mul_f64 v[29:30], v[20:21], v[20:21]
	v_fma_f64 v[24:25], v[10:11], -v[12:13], v[24:25]
	v_fma_f64 v[33:34], v[20:21], v[33:34], s[20:21]
	v_fma_f64 v[24:25], v[29:30], v[33:34], v[24:25]
	v_mul_f64 v[29:30], v[10:11], -v[20:21]
	v_mul_f64 v[33:34], v[12:13], 0.5
	v_add_f64 v[24:25], v[26:27], v[24:25]
	v_fma_f64 v[26:27], v[20:21], s[22:23], v[35:36]
	v_fma_f64 v[26:27], v[20:21], v[26:27], s[24:25]
	;; [unrolled: 1-line block ×5, first 2 shown]
	v_fma_f64 v[12:13], v[20:21], v[26:27], -v[12:13]
	v_fma_f64 v[12:13], v[29:30], s[40:41], v[12:13]
	v_add_f64 v[10:11], v[10:11], -v[12:13]
	v_and_b32_e32 v12, 1, v28
	v_cmp_eq_u32_e32 vcc, 0, v12
	v_lshlrev_b32_e32 v12, 30, v28
	v_and_b32_e32 v12, 0x80000000, v12
	v_xor_b32_e32 v11, 0x80000000, v11
	v_cndmask_b32_e32 v11, v11, v25, vcc
	v_cndmask_b32_e32 v10, v10, v24, vcc
	v_xor_b32_e32 v11, v11, v12
	v_cndmask_b32_e64 v10, 0, v10, s[6:7]
	v_cndmask_b32_e64 v11, v39, v11, s[6:7]
	v_mul_f64 v[10:11], v[14:15], v[10:11]
	s_mov_b32 s6, 0x33d43651
	s_mov_b32 s7, 0x3fe98845
	v_fma_f64 v[2:3], v[22:23], v[2:3], v[10:11]
	v_mov_b32_e32 v10, 0x100
	v_mul_f64 v[2:3], v[2:3], s[6:7]
	s_mov_b32 s6, 0
	s_brev_b32 s7, 8
	v_cmp_gt_f64_e32 vcc, s[6:7], v[18:19]
	v_cndmask_b32_e32 v10, 0, v10, vcc
	v_ldexp_f64 v[10:11], v[18:19], v10
	v_rsq_f64_e32 v[12:13], v[10:11]
	v_mul_f64 v[14:15], v[10:11], v[12:13]
	v_mul_f64 v[12:13], v[12:13], 0.5
	v_fma_f64 v[18:19], -v[12:13], v[14:15], 0.5
	v_fma_f64 v[14:15], v[14:15], v[18:19], v[14:15]
	v_fma_f64 v[12:13], v[12:13], v[18:19], v[12:13]
	v_fma_f64 v[20:21], -v[14:15], v[14:15], v[10:11]
	v_fma_f64 v[14:15], v[20:21], v[12:13], v[14:15]
	v_fma_f64 v[18:19], -v[14:15], v[14:15], v[10:11]
	v_fma_f64 v[12:13], v[18:19], v[12:13], v[14:15]
	v_mov_b32_e32 v14, 0xffffff80
	v_cndmask_b32_e32 v14, 0, v14, vcc
	v_ldexp_f64 v[12:13], v[12:13], v14
	v_mov_b32_e32 v14, 0x260
	v_cmp_class_f64_e32 vcc, v[10:11], v14
	v_cndmask_b32_e32 v11, v13, v11, vcc
	v_cndmask_b32_e32 v10, v12, v10, vcc
	v_div_scale_f64 v[12:13], s[6:7], v[10:11], v[10:11], v[2:3]
	v_rcp_f64_e32 v[14:15], v[12:13]
	v_fma_f64 v[18:19], -v[12:13], v[14:15], 1.0
	v_fma_f64 v[14:15], v[14:15], v[18:19], v[14:15]
	v_fma_f64 v[18:19], -v[12:13], v[14:15], 1.0
	v_fma_f64 v[14:15], v[14:15], v[18:19], v[14:15]
	v_div_scale_f64 v[18:19], vcc, v[2:3], v[10:11], v[2:3]
	v_mul_f64 v[20:21], v[18:19], v[14:15]
	v_fma_f64 v[12:13], -v[12:13], v[20:21], v[18:19]
	s_nop 1
	v_div_fmas_f64 v[12:13], v[12:13], v[14:15], v[20:21]
	v_div_fixup_f64 v[2:3], v[12:13], v[10:11], v[2:3]
.LBB0_29:
	s_or_b64 exec, exec, s[10:11]
	v_mov_b32_e32 v14, 0
	v_mov_b32_e32 v15, v14
	;; [unrolled: 1-line block ×6, first 2 shown]
.LBB0_30:
	s_or_b64 exec, exec, s[8:9]
	v_add_u32_e32 v33, 0x100, v32
	v_cmp_lt_i32_e32 vcc, v33, v4
	s_and_saveexec_b64 s[8:9], vcc
	s_cbranch_execz .LBB0_52
; %bb.31:
	s_mov_b32 s6, 0
	s_mov_b32 s7, 0x40140000
	s_waitcnt vmcnt(0) lgkmcnt(0)
	v_cmp_ge_f64_e32 vcc, s[6:7], v[16:17]
	s_and_saveexec_b64 s[6:7], vcc
	s_xor_b64 s[6:7], exec, s[6:7]
                                        ; implicit-def: $vgpr14_vgpr15
	s_cbranch_execz .LBB0_41
; %bb.32:
	v_cmp_neq_f64_e32 vcc, 0, v[16:17]
	v_mov_b32_e32 v14, 0
	v_mov_b32_e32 v15, 0xfff00000
	s_and_saveexec_b64 s[10:11], vcc
	s_cbranch_execz .LBB0_40
; %bb.33:
	v_cmp_ngt_f64_e32 vcc, 0, v[16:17]
	v_mov_b32_e32 v14, 0
	v_mov_b32_e32 v15, 0x7ff80000
	s_and_saveexec_b64 s[12:13], vcc
	s_cbranch_execz .LBB0_39
; %bb.34:
	v_mul_f64 v[14:15], v[16:17], v[16:17]
	s_mov_b32 s14, 0x88e368f1
	s_mov_b32 s15, 0x3ee4f8b5
	v_cmp_ngt_f64_e32 vcc, s[14:15], v[16:17]
                                        ; implicit-def: $vgpr18_vgpr19
	v_mul_f64 v[20:21], v[14:15], 0
	s_and_saveexec_b64 s[14:15], vcc
	s_xor_b64 s[14:15], exec, s[14:15]
	s_cbranch_execz .LBB0_36
; %bb.35:
	s_mov_b32 s16, 0xa696b78c
	s_mov_b32 s17, 0x407f3902
	v_add_f64 v[18:19], v[20:21], s[16:17]
	s_mov_b32 s16, 0x36a21a67
	s_mov_b32 s17, 0x410536cb
	;; [unrolled: 1-line block ×7, first 2 shown]
	v_fma_f64 v[18:19], v[14:15], v[18:19], s[16:17]
	s_mov_b32 s16, 0x2eac0634
	s_mov_b32 s17, 0x41871934
	;; [unrolled: 1-line block ×3, first 2 shown]
	v_fma_f64 v[18:19], v[14:15], v[18:19], s[16:17]
	s_mov_b32 s16, 0xad1c8325
	s_mov_b32 s17, 0xc1f1dc53
	v_add_f64 v[22:23], v[20:21], s[16:17]
	s_mov_b32 s16, 0xe0d900f7
	s_mov_b32 s17, 0xc2ec5614
	v_fma_f64 v[18:19], v[14:15], v[18:19], s[20:21]
	s_mov_b32 s20, 0x72182e46
	s_mov_b32 s21, 0x427ebeb3
	v_fma_f64 v[22:23], v[14:15], v[22:23], s[18:19]
	s_mov_b32 s18, 0x80462bbb
	s_mov_b32 s19, 0xc01721fb
	v_add_f64 v[24:25], v[14:15], s[18:19]
	s_mov_b32 s18, 0x69ff5fb4
	v_fma_f64 v[18:19], v[14:15], v[18:19], s[20:21]
	s_mov_b32 s20, 0xa621dd6f
	s_mov_b32 s21, 0xc03e78a4
	v_add_f64 v[26:27], v[14:15], s[20:21]
	v_fma_f64 v[22:23], v[14:15], v[22:23], s[16:17]
	s_mov_b32 s16, 0x7e7b2e9c
	s_mov_b32 s17, 0x435c4141
	;; [unrolled: 1-line block ×3, first 2 shown]
	v_fma_f64 v[18:19], v[14:15], v[18:19], s[22:23]
	v_mul_f64 v[24:25], v[24:25], v[26:27]
	v_fma_f64 v[22:23], v[14:15], v[22:23], s[18:19]
	v_fma_f64 v[18:19], v[14:15], v[18:19], s[16:17]
	s_mov_b32 s16, 0xc7b662cc
	s_mov_b32 s17, 0x43b7be34
	v_mul_f64 v[22:23], v[24:25], v[22:23]
	v_fma_f64 v[18:19], v[14:15], v[18:19], s[16:17]
	v_div_scale_f64 v[24:25], s[16:17], v[18:19], v[18:19], v[22:23]
	v_div_scale_f64 v[30:31], vcc, v[22:23], v[18:19], v[22:23]
	v_rcp_f64_e32 v[26:27], v[24:25]
	v_fma_f64 v[28:29], -v[24:25], v[26:27], 1.0
	v_fma_f64 v[26:27], v[26:27], v[28:29], v[26:27]
	v_fma_f64 v[28:29], -v[24:25], v[26:27], 1.0
	v_fma_f64 v[26:27], v[26:27], v[28:29], v[26:27]
	v_mul_f64 v[28:29], v[30:31], v[26:27]
	v_fma_f64 v[24:25], -v[24:25], v[28:29], v[30:31]
	v_div_fmas_f64 v[24:25], v[24:25], v[26:27], v[28:29]
	v_div_fixup_f64 v[18:19], v[24:25], v[18:19], v[22:23]
.LBB0_36:
	s_andn2_saveexec_b64 s[14:15], s[14:15]
	s_cbranch_execz .LBB0_38
; %bb.37:
	s_mov_b32 s16, 0
	s_mov_b32 s17, 0xbfd00000
	v_fma_f64 v[18:19], v[14:15], s[16:17], 1.0
.LBB0_38:
	s_or_b64 exec, exec, s[14:15]
	v_frexp_mant_f64_e32 v[22:23], v[16:17]
	s_mov_b32 s15, 0x3fe55555
	s_mov_b32 s14, 0x55555555
	;; [unrolled: 1-line block ×7, first 2 shown]
	v_cmp_gt_f64_e32 vcc, s[14:15], v[22:23]
	s_mov_b32 s27, 0x3fcc71c0
	s_mov_b32 s18, 0x32e48896
	;; [unrolled: 1-line block ×7, first 2 shown]
	v_cndmask_b32_e64 v24, 0, 1, vcc
	v_ldexp_f64 v[22:23], v[22:23], v24
	s_mov_b32 s25, 0x42d3ea72
	s_mov_b32 s28, 0x660b4003
	s_mov_b32 s29, 0x4363a94b
	v_add_f64 v[24:25], v[22:23], 1.0
	v_add_f64 v[30:31], v[22:23], -1.0
	v_rcp_f64_e32 v[26:27], v[24:25]
	v_add_f64 v[34:35], v[24:25], -1.0
	v_add_f64 v[22:23], v[22:23], -v[34:35]
	v_fma_f64 v[28:29], -v[24:25], v[26:27], 1.0
	v_fma_f64 v[26:27], v[28:29], v[26:27], v[26:27]
	v_fma_f64 v[28:29], -v[24:25], v[26:27], 1.0
	v_fma_f64 v[26:27], v[28:29], v[26:27], v[26:27]
	v_mul_f64 v[28:29], v[30:31], v[26:27]
	v_mul_f64 v[36:37], v[24:25], v[28:29]
	v_fma_f64 v[24:25], v[28:29], v[24:25], -v[36:37]
	v_fma_f64 v[22:23], v[28:29], v[22:23], v[24:25]
	v_add_f64 v[24:25], v[36:37], v[22:23]
	v_add_f64 v[34:35], v[30:31], -v[24:25]
	v_add_f64 v[36:37], v[24:25], -v[36:37]
	;; [unrolled: 1-line block ×5, first 2 shown]
	v_mov_b32_e32 v30, 0x6b47b09a
	v_mov_b32_e32 v31, 0x3fc38538
	v_add_f64 v[22:23], v[22:23], v[24:25]
	v_add_f64 v[22:23], v[34:35], v[22:23]
	v_mul_f64 v[22:23], v[26:27], v[22:23]
	v_add_f64 v[24:25], v[28:29], v[22:23]
	v_mul_f64 v[26:27], v[24:25], v[24:25]
	v_fma_f64 v[30:31], v[26:27], s[16:17], v[30:31]
	s_mov_b32 s16, 0xe896898f
	s_mov_b32 s17, 0x40ce7437
	v_add_f64 v[34:35], v[20:21], s[16:17]
	s_mov_b32 s16, 0x9b27acf1
	s_mov_b32 s17, 0x3fd24924
	v_mul_f64 v[36:37], v[24:25], v[26:27]
	v_fma_f64 v[30:31], v[26:27], v[30:31], s[20:21]
	s_mov_b32 s20, 0xf0284cdd
	s_mov_b32 s21, 0x41f43f78
	v_fma_f64 v[34:35], v[14:15], v[34:35], s[18:19]
	s_mov_b32 s18, 0x5164d101
	s_mov_b32 s19, 0x41b00763
	;; [unrolled: 3-line block ×3, first 2 shown]
	v_fma_f64 v[34:35], v[14:15], v[34:35], s[20:21]
	v_fma_f64 v[30:31], v[26:27], v[30:31], s[16:17]
	s_mov_b32 s16, 0x576dfcb6
	s_mov_b32 s17, 0x40904522
	v_add_f64 v[20:21], v[20:21], s[16:17]
	s_mov_b32 s16, 0x998ef7b6
	s_mov_b32 s17, 0x3fd99999
	v_fma_f64 v[30:31], v[26:27], v[30:31], s[16:17]
	s_mov_b32 s16, 0xa907bc0c
	s_mov_b32 s17, 0x41231b76
	v_fma_f64 v[20:21], v[14:15], v[20:21], s[16:17]
	;; [unrolled: 3-line block ×3, first 2 shown]
	v_fma_f64 v[30:31], v[14:15], v[34:35], s[22:23]
	v_ldexp_f64 v[34:35], v[24:25], 1
	v_fma_f64 v[20:21], v[14:15], v[20:21], s[18:19]
	s_mov_b32 s14, 0x2b8664bc
	s_mov_b32 s15, 0x42341ddb
	v_add_f64 v[24:25], v[24:25], -v[28:29]
	s_mov_b32 s18, 0xdfeb596d
	v_mul_f64 v[26:27], v[36:37], v[26:27]
	v_frexp_exp_i32_f64_e32 v36, v[16:17]
	s_mov_b32 s19, 0x43268910
	v_fma_f64 v[16:17], v[14:15], v[20:21], s[14:15]
	v_fma_f64 v[20:21], v[14:15], v[30:31], s[24:25]
	s_mov_b32 s14, 0xfefa39ef
	s_mov_b32 s15, 0x3fe62e42
	v_add_f64 v[22:23], v[22:23], -v[24:25]
	v_add_f64 v[28:29], v[34:35], v[26:27]
	v_subbrev_co_u32_e32 v30, vcc, 0, v36, vcc
	v_cvt_f64_i32_e32 v[30:31], v30
	v_fma_f64 v[16:17], v[14:15], v[16:17], s[16:17]
	v_fma_f64 v[20:21], v[14:15], v[20:21], s[26:27]
	s_mov_b32 s16, 0xbcf9b5d0
	v_mul_f64 v[36:37], v[30:31], s[14:15]
	v_add_f64 v[24:25], v[28:29], -v[34:35]
	v_ldexp_f64 v[22:23], v[22:23], 1
	s_mov_b32 s17, 0x438bd25f
	v_fma_f64 v[16:17], v[14:15], v[16:17], s[18:19]
	v_fma_f64 v[20:21], v[14:15], v[20:21], s[28:29]
	v_fma_f64 v[34:35], v[30:31], s[14:15], -v[36:37]
	v_add_f64 v[24:25], v[26:27], -v[24:25]
	s_mov_b32 s14, 0x5906367b
	s_mov_b32 s15, 0xc3506d4b
	v_fma_f64 v[16:17], v[14:15], v[16:17], s[16:17]
	v_fma_f64 v[14:15], v[14:15], v[20:21], s[14:15]
	s_mov_b32 s14, 0x3b39803f
	s_mov_b32 s15, 0x3c7abc9e
	v_fma_f64 v[20:21], v[30:31], s[14:15], v[34:35]
	v_add_f64 v[22:23], v[22:23], v[24:25]
	v_div_scale_f64 v[24:25], s[14:15], v[16:17], v[16:17], v[14:15]
	s_mov_b32 s14, 0x6dc9c883
	v_add_f64 v[26:27], v[36:37], v[20:21]
	v_add_f64 v[30:31], v[28:29], v[22:23]
	s_mov_b32 s15, 0x3fe45f30
	v_add_f64 v[36:37], v[26:27], -v[36:37]
	v_add_f64 v[34:35], v[26:27], v[30:31]
	v_add_f64 v[28:29], v[30:31], -v[28:29]
	v_rcp_f64_e32 v[38:39], v[24:25]
	v_add_f64 v[20:21], v[20:21], -v[36:37]
	v_add_f64 v[48:49], v[34:35], -v[26:27]
	;; [unrolled: 1-line block ×5, first 2 shown]
	v_add_f64 v[36:37], v[20:21], v[22:23]
	v_fma_f64 v[52:53], -v[24:25], v[38:39], 1.0
	v_add_f64 v[26:27], v[26:27], -v[50:51]
	v_add_f64 v[48:49], v[36:37], -v[20:21]
	v_fma_f64 v[30:31], v[38:39], v[52:53], v[38:39]
	v_div_scale_f64 v[38:39], vcc, v[14:15], v[16:17], v[14:15]
	v_add_f64 v[26:27], v[28:29], v[26:27]
	v_add_f64 v[22:23], v[22:23], -v[48:49]
	v_fma_f64 v[28:29], -v[24:25], v[30:31], 1.0
	v_add_f64 v[26:27], v[36:37], v[26:27]
	v_fma_f64 v[28:29], v[30:31], v[28:29], v[30:31]
	v_add_f64 v[30:31], v[36:37], -v[48:49]
	v_add_f64 v[36:37], v[34:35], v[26:27]
	v_mul_f64 v[50:51], v[38:39], v[28:29]
	v_add_f64 v[20:21], v[20:21], -v[30:31]
	v_add_f64 v[30:31], v[36:37], -v[34:35]
	v_fma_f64 v[24:25], -v[24:25], v[50:51], v[38:39]
	v_add_f64 v[20:21], v[22:23], v[20:21]
	v_add_f64 v[22:23], v[26:27], -v[30:31]
	v_div_fmas_f64 v[24:25], v[24:25], v[28:29], v[50:51]
	v_add_f64 v[20:21], v[20:21], v[22:23]
	v_add_f64 v[20:21], v[36:37], v[20:21]
	v_div_fixup_f64 v[14:15], v[24:25], v[16:17], v[14:15]
	v_mul_f64 v[16:17], v[20:21], s[14:15]
	v_fma_f64 v[14:15], v[16:17], v[18:19], v[14:15]
.LBB0_39:
	s_or_b64 exec, exec, s[12:13]
.LBB0_40:
	s_or_b64 exec, exec, s[10:11]
                                        ; implicit-def: $vgpr16_vgpr17
.LBB0_41:
	s_andn2_saveexec_b64 s[10:11], s[6:7]
	s_cbranch_execz .LBB0_51
; %bb.42:
	s_mov_b32 s13, 0xbfe921fb
	s_mov_b32 s12, 0x54442d18
	v_add_f64 v[14:15], v[16:17], s[12:13]
	s_mov_b32 s6, 0
	s_mov_b32 s7, 0x41d00000
                                        ; implicit-def: $vgpr35
                                        ; implicit-def: $vgpr22_vgpr23
                                        ; implicit-def: $vgpr24_vgpr25
	v_trig_preop_f64 v[30:31], |v[14:15]|, 0
	v_trig_preop_f64 v[28:29], |v[14:15]|, 1
	;; [unrolled: 1-line block ×3, first 2 shown]
	v_cmp_nlt_f64_e64 s[6:7], |v[14:15]|, s[6:7]
	s_and_saveexec_b64 s[14:15], s[6:7]
	s_xor_b64 s[14:15], exec, s[14:15]
	s_cbranch_execz .LBB0_44
; %bb.43:
	s_mov_b32 s16, 0
	s_mov_b32 s17, 0x7b000000
	s_movk_i32 s13, 0xff80
	v_ldexp_f64 v[18:19], |v[14:15]|, s13
	v_cmp_ge_f64_e64 vcc, |v[14:15]|, s[16:17]
	v_and_b32_e32 v20, 0x7fffffff, v15
	s_mov_b32 s16, 0
	s_mov_b32 s17, 0x7ff00000
	v_mov_b32_e32 v55, 0x40100000
	v_mov_b32_e32 v54, 0
	s_mov_b32 s13, 0x3ff921fb
	v_cndmask_b32_e32 v19, v20, v19, vcc
	v_cndmask_b32_e32 v18, v14, v18, vcc
	v_mul_f64 v[20:21], v[30:31], v[18:19]
	v_mul_f64 v[22:23], v[28:29], v[18:19]
	v_mul_f64 v[48:49], v[26:27], v[18:19]
	v_fma_f64 v[24:25], v[30:31], v[18:19], -v[20:21]
	v_fma_f64 v[50:51], v[28:29], v[18:19], -v[22:23]
	;; [unrolled: 1-line block ×3, first 2 shown]
	v_add_f64 v[34:35], v[22:23], v[24:25]
	v_add_f64 v[36:37], v[34:35], -v[22:23]
	v_add_f64 v[52:53], v[20:21], v[34:35]
	v_add_f64 v[38:39], v[34:35], -v[36:37]
	v_add_f64 v[24:25], v[24:25], -v[36:37]
	v_add_f64 v[36:37], v[48:49], v[50:51]
	v_add_f64 v[20:21], v[52:53], -v[20:21]
	v_add_f64 v[22:23], v[22:23], -v[38:39]
	v_ldexp_f64 v[38:39], v[52:53], -2
	v_add_f64 v[64:65], v[36:37], -v[48:49]
	v_add_f64 v[20:21], v[34:35], -v[20:21]
	v_add_f64 v[22:23], v[24:25], v[22:23]
	v_fract_f64_e32 v[24:25], v[38:39]
	v_cmp_neq_f64_e64 vcc, |v[38:39]|, s[16:17]
	v_add_f64 v[50:51], v[50:51], -v[64:65]
	s_mov_b32 s16, 0x33145c07
	s_mov_b32 s17, 0x3c91a626
	v_add_f64 v[34:35], v[36:37], v[22:23]
	v_ldexp_f64 v[24:25], v[24:25], 2
	v_add_f64 v[38:39], v[20:21], v[34:35]
	v_cndmask_b32_e32 v25, 0, v25, vcc
	v_cndmask_b32_e32 v24, 0, v24, vcc
	v_add_f64 v[66:67], v[34:35], -v[36:37]
	v_add_f64 v[52:53], v[38:39], v[24:25]
	v_add_f64 v[20:21], v[38:39], -v[20:21]
	v_add_f64 v[68:69], v[34:35], -v[66:67]
	;; [unrolled: 1-line block ×3, first 2 shown]
	v_cmp_gt_f64_e32 vcc, 0, v[52:53]
	v_add_f64 v[52:53], v[36:37], -v[64:65]
	v_add_f64 v[20:21], v[34:35], -v[20:21]
	v_add_f64 v[36:37], v[36:37], -v[68:69]
	v_cndmask_b32_e32 v55, 0, v55, vcc
	v_add_f64 v[24:25], v[24:25], v[54:55]
	v_add_f64 v[52:53], v[48:49], -v[52:53]
	v_add_f64 v[22:23], v[22:23], v[36:37]
	v_add_f64 v[70:71], v[38:39], v[24:25]
	;; [unrolled: 1-line block ×3, first 2 shown]
	v_cvt_i32_f64_e32 v66, v[70:71]
	v_add_f64 v[22:23], v[50:51], v[22:23]
	v_cvt_f64_i32_e32 v[64:65], v66
	v_add_f64 v[24:25], v[24:25], -v[64:65]
	v_add_f64 v[18:19], v[18:19], v[22:23]
	v_add_f64 v[36:37], v[38:39], v[24:25]
	;; [unrolled: 1-line block ×3, first 2 shown]
	v_add_f64 v[22:23], v[36:37], -v[24:25]
	v_cmp_le_f64_e32 vcc, 0.5, v[36:37]
	v_add_f64 v[20:21], v[38:39], -v[22:23]
	v_mov_b32_e32 v22, 0x3ff00000
	v_cndmask_b32_e32 v55, 0, v22, vcc
	v_add_f64 v[18:19], v[18:19], v[20:21]
	v_add_f64 v[20:21], v[36:37], -v[54:55]
	v_add_f64 v[22:23], v[20:21], v[18:19]
	v_mul_f64 v[24:25], v[22:23], s[12:13]
	v_add_f64 v[20:21], v[22:23], -v[20:21]
	v_fma_f64 v[34:35], v[22:23], s[12:13], -v[24:25]
	v_add_f64 v[18:19], v[18:19], -v[20:21]
	v_fma_f64 v[20:21], v[22:23], s[16:17], v[34:35]
	v_addc_co_u32_e32 v35, vcc, 0, v66, vcc
	v_fma_f64 v[18:19], v[18:19], s[12:13], v[20:21]
	v_add_f64 v[22:23], v[24:25], v[18:19]
	v_add_f64 v[20:21], v[22:23], -v[24:25]
	v_add_f64 v[24:25], v[18:19], -v[20:21]
	s_andn2_saveexec_b64 s[12:13], s[14:15]
	s_cbranch_execz .LBB0_46
	s_branch .LBB0_45
.LBB0_44:
	s_andn2_saveexec_b64 s[12:13], s[14:15]
	s_cbranch_execz .LBB0_46
.LBB0_45:
	s_mov_b32 s14, 0x6dc9c883
	s_mov_b32 s15, 0x3fe45f30
	v_mul_f64 v[18:19], |v[14:15]|, s[14:15]
	s_mov_b32 s14, 0x54442d18
	s_mov_b32 s15, 0xbff921fb
	;; [unrolled: 1-line block ×4, first 2 shown]
	v_rndne_f64_e32 v[18:19], v[18:19]
	v_fma_f64 v[20:21], v[18:19], s[14:15], |v[14:15]|
	v_mul_f64 v[22:23], v[18:19], s[16:17]
	s_mov_b32 s14, 0x252049c0
	s_mov_b32 s15, 0xb97b839a
	v_add_f64 v[24:25], v[20:21], v[22:23]
	v_add_f64 v[34:35], v[20:21], -v[24:25]
	v_fma_f64 v[20:21], v[18:19], s[16:17], v[20:21]
	s_mov_b32 s17, 0x3c91a626
	v_add_f64 v[34:35], v[34:35], v[22:23]
	v_add_f64 v[24:25], v[24:25], -v[20:21]
	v_fma_f64 v[22:23], v[18:19], s[16:17], v[22:23]
	v_add_f64 v[24:25], v[24:25], v[34:35]
	v_cvt_i32_f64_e32 v35, v[18:19]
	v_add_f64 v[22:23], v[24:25], -v[22:23]
	v_fma_f64 v[24:25], v[18:19], s[14:15], v[22:23]
	v_add_f64 v[22:23], v[20:21], v[24:25]
	v_add_f64 v[20:21], v[22:23], -v[20:21]
	v_add_f64 v[24:25], v[24:25], -v[20:21]
.LBB0_46:
	s_or_b64 exec, exec, s[12:13]
                                        ; implicit-def: $vgpr34
                                        ; implicit-def: $vgpr18_vgpr19
                                        ; implicit-def: $vgpr20_vgpr21
	s_and_saveexec_b64 s[12:13], s[6:7]
	s_xor_b64 s[12:13], exec, s[12:13]
	s_cbranch_execz .LBB0_48
; %bb.47:
	s_mov_b32 s6, 0
	s_mov_b32 s7, 0x7b000000
	s_movk_i32 s14, 0xff80
	v_ldexp_f64 v[18:19], |v[14:15]|, s14
	v_cmp_ge_f64_e64 vcc, |v[14:15]|, s[6:7]
	v_and_b32_e32 v20, 0x7fffffff, v15
	s_mov_b32 s6, 0
	s_mov_b32 s7, 0x7ff00000
	v_mov_b32_e32 v34, 0x40100000
	v_mov_b32_e32 v64, 0
	s_mov_b32 s14, 0x33145c07
	s_mov_b32 s15, 0x3c91a626
	v_cndmask_b32_e32 v19, v20, v19, vcc
	v_cndmask_b32_e32 v18, v14, v18, vcc
	v_mul_f64 v[20:21], v[30:31], v[18:19]
	v_mul_f64 v[36:37], v[28:29], v[18:19]
	;; [unrolled: 1-line block ×3, first 2 shown]
	v_fma_f64 v[30:31], v[30:31], v[18:19], -v[20:21]
	v_fma_f64 v[28:29], v[28:29], v[18:19], -v[36:37]
	;; [unrolled: 1-line block ×3, first 2 shown]
	v_add_f64 v[38:39], v[36:37], v[30:31]
	v_add_f64 v[48:49], v[38:39], -v[36:37]
	v_add_f64 v[54:55], v[20:21], v[38:39]
	v_add_f64 v[50:51], v[38:39], -v[48:49]
	v_add_f64 v[30:31], v[30:31], -v[48:49]
	v_add_f64 v[48:49], v[52:53], v[28:29]
	v_add_f64 v[20:21], v[54:55], -v[20:21]
	v_add_f64 v[36:37], v[36:37], -v[50:51]
	v_ldexp_f64 v[50:51], v[54:55], -2
	v_add_f64 v[66:67], v[48:49], -v[52:53]
	v_add_f64 v[20:21], v[38:39], -v[20:21]
	v_add_f64 v[30:31], v[30:31], v[36:37]
	v_fract_f64_e32 v[36:37], v[50:51]
	v_cmp_neq_f64_e64 vcc, |v[50:51]|, s[6:7]
	v_add_f64 v[28:29], v[28:29], -v[66:67]
	v_add_f64 v[38:39], v[48:49], v[30:31]
	v_ldexp_f64 v[36:37], v[36:37], 2
	v_add_f64 v[50:51], v[20:21], v[38:39]
	v_cndmask_b32_e32 v37, 0, v37, vcc
	v_cndmask_b32_e32 v36, 0, v36, vcc
	v_add_f64 v[68:69], v[38:39], -v[48:49]
	v_add_f64 v[54:55], v[50:51], v[36:37]
	v_add_f64 v[20:21], v[50:51], -v[20:21]
	v_add_f64 v[70:71], v[38:39], -v[68:69]
	;; [unrolled: 1-line block ×3, first 2 shown]
	v_cmp_gt_f64_e32 vcc, 0, v[54:55]
	v_add_f64 v[54:55], v[48:49], -v[66:67]
	v_add_f64 v[20:21], v[38:39], -v[20:21]
	;; [unrolled: 1-line block ×3, first 2 shown]
	v_cndmask_b32_e32 v65, 0, v34, vcc
	v_add_f64 v[36:37], v[36:37], v[64:65]
	v_add_f64 v[54:55], v[52:53], -v[54:55]
	v_add_f64 v[30:31], v[30:31], v[48:49]
	v_add_f64 v[80:81], v[50:51], v[36:37]
	;; [unrolled: 1-line block ×3, first 2 shown]
	v_cvt_i32_f64_e32 v34, v[80:81]
	v_add_f64 v[26:27], v[28:29], v[30:31]
	v_cvt_f64_i32_e32 v[65:66], v34
	v_add_f64 v[36:37], v[36:37], -v[65:66]
	v_add_f64 v[18:19], v[18:19], v[26:27]
	v_add_f64 v[28:29], v[50:51], v[36:37]
	;; [unrolled: 1-line block ×3, first 2 shown]
	v_add_f64 v[26:27], v[28:29], -v[36:37]
	v_cmp_le_f64_e32 vcc, 0.5, v[28:29]
	v_add_f64 v[20:21], v[50:51], -v[26:27]
	v_mov_b32_e32 v26, 0x3ff00000
	v_cndmask_b32_e32 v65, 0, v26, vcc
	v_addc_co_u32_e64 v34, s[6:7], 0, v34, vcc
	s_mov_b32 s6, 0x54442d18
	s_mov_b32 s7, 0x3ff921fb
	v_add_f64 v[18:19], v[18:19], v[20:21]
	v_add_f64 v[20:21], v[28:29], -v[64:65]
	v_add_f64 v[26:27], v[20:21], v[18:19]
	v_mul_f64 v[28:29], v[26:27], s[6:7]
	v_add_f64 v[20:21], v[26:27], -v[20:21]
	v_fma_f64 v[30:31], v[26:27], s[6:7], -v[28:29]
	v_add_f64 v[18:19], v[18:19], -v[20:21]
	v_fma_f64 v[20:21], v[26:27], s[14:15], v[30:31]
	v_fma_f64 v[20:21], v[18:19], s[6:7], v[20:21]
	v_add_f64 v[18:19], v[28:29], v[20:21]
	v_add_f64 v[26:27], v[18:19], -v[28:29]
	v_add_f64 v[20:21], v[20:21], -v[26:27]
	s_andn2_saveexec_b64 s[6:7], s[12:13]
	s_cbranch_execnz .LBB0_49
	s_branch .LBB0_50
.LBB0_48:
	s_andn2_saveexec_b64 s[6:7], s[12:13]
	s_cbranch_execz .LBB0_50
.LBB0_49:
	s_mov_b32 s12, 0x6dc9c883
	s_mov_b32 s13, 0x3fe45f30
	v_mul_f64 v[18:19], |v[14:15]|, s[12:13]
	s_mov_b32 s12, 0x54442d18
	s_mov_b32 s13, 0xbff921fb
	;; [unrolled: 1-line block ×4, first 2 shown]
	v_rndne_f64_e32 v[26:27], v[18:19]
	v_fma_f64 v[18:19], v[26:27], s[12:13], |v[14:15]|
	v_mul_f64 v[20:21], v[26:27], s[14:15]
	s_mov_b32 s12, 0x252049c0
	s_mov_b32 s13, 0xb97b839a
	v_cvt_i32_f64_e32 v34, v[26:27]
	v_fma_f64 v[36:37], v[26:27], s[14:15], v[18:19]
	v_add_f64 v[28:29], v[18:19], v[20:21]
	s_mov_b32 s15, 0x3c91a626
	v_add_f64 v[30:31], v[18:19], -v[28:29]
	v_add_f64 v[28:29], v[28:29], -v[36:37]
	v_add_f64 v[18:19], v[30:31], v[20:21]
	v_fma_f64 v[20:21], v[26:27], s[14:15], v[20:21]
	v_add_f64 v[18:19], v[28:29], v[18:19]
	v_add_f64 v[18:19], v[18:19], -v[20:21]
	v_fma_f64 v[20:21], v[26:27], s[12:13], v[18:19]
	v_add_f64 v[18:19], v[36:37], v[20:21]
	v_add_f64 v[28:29], v[18:19], -v[36:37]
	v_add_f64 v[20:21], v[20:21], -v[28:29]
.LBB0_50:
	s_or_b64 exec, exec, s[6:7]
	v_mul_f64 v[26:27], v[16:17], v[16:17]
	s_mov_b32 s6, 0
	s_mov_b32 s7, 0x40390000
	s_mov_b32 s14, 0xa17f65f6
	s_mov_b32 s15, 0xbe927e4f
	s_mov_b32 s16, 0x19f4ec90
	s_mov_b32 s17, 0x3efa01a0
	s_mov_b32 s18, 0x16c16967
	v_div_scale_f64 v[28:29], s[12:13], v[26:27], v[26:27], s[6:7]
	s_mov_b32 s12, 0x46cc5e42
	s_mov_b32 s13, 0xbda907db
	;; [unrolled: 1-line block ×13, first 2 shown]
	v_mul_f64 v[64:65], v[24:25], 0.5
	v_rcp_f64_e32 v[30:31], v[28:29]
	s_mov_b32 s41, 0xbfc55555
	s_mov_b32 s40, s20
	;; [unrolled: 1-line block ×4, first 2 shown]
	v_fma_f64 v[36:37], -v[28:29], v[30:31], 1.0
	v_fma_f64 v[30:31], v[30:31], v[36:37], v[30:31]
	v_fma_f64 v[36:37], -v[28:29], v[30:31], 1.0
	v_fma_f64 v[30:31], v[30:31], v[36:37], v[30:31]
	v_div_scale_f64 v[36:37], vcc, s[6:7], v[26:27], s[6:7]
	v_mul_f64 v[38:39], v[36:37], v[30:31]
	v_fma_f64 v[28:29], -v[28:29], v[38:39], v[36:37]
	s_nop 1
	v_div_fmas_f64 v[28:29], v[28:29], v[30:31], v[38:39]
	v_mov_b32_e32 v38, 0x413c25ac
	v_mov_b32_e32 v39, 0x40501457
	v_div_fixup_f64 v[28:29], v[28:29], v[26:27], s[6:7]
	v_mov_b32_e32 v26, 0x983b6b27
	v_mov_b32_e32 v27, 0x3f4a1d30
	s_mov_b32 s6, 0xb35dd1cf
	s_mov_b32 s7, 0x3fb534b0
	v_fma_f64 v[26:27], v[28:29], 0, v[26:27]
	v_fma_f64 v[38:39], v[28:29], 0, v[38:39]
	;; [unrolled: 1-line block ×3, first 2 shown]
	s_mov_b32 s6, 0x4e680b98
	s_mov_b32 s7, 0x3ff3d521
	v_fma_f64 v[26:27], v[28:29], v[26:27], s[6:7]
	s_mov_b32 s6, 0xe97a0956
	s_mov_b32 s7, 0x4015c9fb
	v_fma_f64 v[26:27], v[28:29], v[26:27], s[6:7]
	;; [unrolled: 3-line block ×4, first 2 shown]
	v_mov_b32_e32 v26, 0xce039737
	v_mov_b32_e32 v27, 0x3f4e4a80
	v_fma_f64 v[26:27], v[28:29], 0, v[26:27]
	s_mov_b32 s6, 0xab5454e3
	s_mov_b32 s7, 0x3fb5ebc5
	v_fma_f64 v[26:27], v[28:29], v[26:27], s[6:7]
	s_mov_b32 s6, 0xc9b3069f
	s_mov_b32 s7, 0x3ff40e72
	;; [unrolled: 3-line block ×6, first 2 shown]
	v_fma_f64 v[36:37], v[28:29], v[26:27], 1.0
	v_mov_b32_e32 v26, 0x38a5384a
	v_mov_b32_e32 v27, 0xbf874742
	v_fma_f64 v[26:27], v[28:29], 0, v[26:27]
	v_fma_f64 v[26:27], v[28:29], v[26:27], s[6:7]
	s_mov_b32 s6, 0xf50e2c0c
	s_mov_b32 s7, 0xc0338dcf
	v_fma_f64 v[26:27], v[28:29], v[26:27], s[6:7]
	s_mov_b32 s6, 0x5a6de8c4
	s_mov_b32 s7, 0xc0574d2f
	;; [unrolled: 3-line block ×12, first 2 shown]
	v_fma_f64 v[38:39], v[28:29], v[38:39], s[6:7]
	v_fma_f64 v[28:29], v[28:29], v[30:31], 1.0
	v_div_scale_f64 v[30:31], s[6:7], v[36:37], v[36:37], v[28:29]
	s_mov_b32 s6, 0x9037ab78
	s_mov_b32 s7, 0x3e21eeb6
	v_rcp_f64_e32 v[48:49], v[30:31]
	v_fma_f64 v[50:51], -v[30:31], v[48:49], 1.0
	v_fma_f64 v[48:49], v[48:49], v[50:51], v[48:49]
	v_fma_f64 v[50:51], -v[30:31], v[48:49], 1.0
	v_fma_f64 v[48:49], v[48:49], v[50:51], v[48:49]
	v_div_scale_f64 v[50:51], vcc, v[28:29], v[36:37], v[28:29]
	v_mul_f64 v[52:53], v[50:51], v[48:49]
	v_fma_f64 v[30:31], -v[30:31], v[52:53], v[50:51]
	s_nop 1
	v_div_fmas_f64 v[30:31], v[30:31], v[48:49], v[52:53]
	v_mov_b32_e32 v53, s7
	v_mov_b32_e32 v52, s6
	s_mov_b32 s6, 0xb42fdfa7
	s_mov_b32 s7, 0xbe5ae600
	v_div_fixup_f64 v[28:29], v[30:31], v[36:37], v[28:29]
	v_mul_f64 v[30:31], v[22:23], v[22:23]
	v_mul_f64 v[36:37], v[30:31], 0.5
	v_fma_f64 v[54:55], v[30:31], s[12:13], v[52:53]
	v_add_f64 v[48:49], -v[36:37], 1.0
	v_fma_f64 v[54:55], v[30:31], v[54:55], s[14:15]
	v_add_f64 v[50:51], -v[48:49], 1.0
	v_fma_f64 v[54:55], v[30:31], v[54:55], s[16:17]
	v_add_f64 v[36:37], v[50:51], -v[36:37]
	v_fma_f64 v[54:55], v[30:31], v[54:55], s[18:19]
	v_mul_f64 v[50:51], v[30:31], v[30:31]
	v_fma_f64 v[36:37], v[22:23], -v[24:25], v[36:37]
	v_fma_f64 v[54:55], v[30:31], v[54:55], s[20:21]
	v_fma_f64 v[36:37], v[50:51], v[54:55], v[36:37]
	v_mul_f64 v[54:55], v[22:23], -v[30:31]
	v_add_f64 v[36:37], v[48:49], v[36:37]
	v_mov_b32_e32 v49, s7
	v_mov_b32_e32 v48, s6
	v_fma_f64 v[50:51], v[30:31], s[22:23], v[48:49]
	s_movk_i32 s6, 0x1f8
	v_cmp_class_f64_e64 s[6:7], v[14:15], s6
	v_fma_f64 v[50:51], v[30:31], v[50:51], s[24:25]
	v_fma_f64 v[50:51], v[30:31], v[50:51], s[26:27]
	;; [unrolled: 1-line block ×4, first 2 shown]
	v_fma_f64 v[24:25], v[30:31], v[50:51], -v[24:25]
	v_fma_f64 v[24:25], v[54:55], s[40:41], v[24:25]
	v_mov_b32_e32 v54, 0x7ff80000
	v_add_f64 v[22:23], v[22:23], -v[24:25]
	v_and_b32_e32 v24, 1, v35
	v_cmp_eq_u32_e32 vcc, 0, v24
	v_lshlrev_b32_e32 v24, 30, v35
	v_xor_b32_e32 v24, v24, v15
	v_and_b32_e32 v24, 0x80000000, v24
	v_cndmask_b32_e32 v23, v37, v23, vcc
	v_cndmask_b32_e32 v22, v36, v22, vcc
	v_xor_b32_e32 v23, v23, v24
	v_cndmask_b32_e64 v14, 0, v22, s[6:7]
	v_cndmask_b32_e64 v15, v54, v23, s[6:7]
	v_div_scale_f64 v[22:23], s[46:47], v[16:17], v[16:17], s[44:45]
	v_rcp_f64_e32 v[24:25], v[22:23]
	v_fma_f64 v[30:31], -v[22:23], v[24:25], 1.0
	v_fma_f64 v[24:25], v[24:25], v[30:31], v[24:25]
	v_fma_f64 v[30:31], -v[22:23], v[24:25], 1.0
	v_fma_f64 v[24:25], v[24:25], v[30:31], v[24:25]
	v_div_scale_f64 v[30:31], vcc, s[44:45], v[16:17], s[44:45]
	v_mul_f64 v[35:36], v[30:31], v[24:25]
	v_fma_f64 v[22:23], -v[22:23], v[35:36], v[30:31]
	s_nop 1
	v_div_fmas_f64 v[22:23], v[22:23], v[24:25], v[35:36]
	v_div_fixup_f64 v[22:23], v[22:23], v[16:17], s[44:45]
	v_div_scale_f64 v[24:25], s[44:45], v[38:39], v[38:39], v[26:27]
	v_rcp_f64_e32 v[30:31], v[24:25]
	v_fma_f64 v[35:36], -v[24:25], v[30:31], 1.0
	v_fma_f64 v[30:31], v[30:31], v[35:36], v[30:31]
	v_fma_f64 v[35:36], -v[24:25], v[30:31], 1.0
	v_fma_f64 v[30:31], v[30:31], v[35:36], v[30:31]
	v_div_scale_f64 v[35:36], vcc, v[26:27], v[38:39], v[26:27]
	v_mul_f64 v[50:51], v[35:36], v[30:31]
	v_fma_f64 v[24:25], -v[24:25], v[50:51], v[35:36]
	s_nop 1
	v_div_fmas_f64 v[24:25], v[24:25], v[30:31], v[50:51]
	v_div_fixup_f64 v[24:25], v[24:25], v[38:39], v[26:27]
	v_mul_f64 v[22:23], v[22:23], v[24:25]
	v_mul_f64 v[24:25], v[18:19], v[18:19]
	v_mul_f64 v[26:27], v[24:25], 0.5
	v_fma_f64 v[37:38], v[24:25], s[12:13], v[52:53]
	v_add_f64 v[30:31], -v[26:27], 1.0
	v_fma_f64 v[37:38], v[24:25], v[37:38], s[14:15]
	v_add_f64 v[35:36], -v[30:31], 1.0
	v_fma_f64 v[37:38], v[24:25], v[37:38], s[16:17]
	v_add_f64 v[26:27], v[35:36], -v[26:27]
	v_fma_f64 v[37:38], v[24:25], v[37:38], s[18:19]
	v_mul_f64 v[35:36], v[24:25], v[24:25]
	v_fma_f64 v[26:27], v[18:19], -v[20:21], v[26:27]
	v_fma_f64 v[37:38], v[24:25], v[37:38], s[20:21]
	v_fma_f64 v[26:27], v[35:36], v[37:38], v[26:27]
	v_mul_f64 v[35:36], v[18:19], -v[24:25]
	v_mul_f64 v[37:38], v[20:21], 0.5
	v_add_f64 v[26:27], v[30:31], v[26:27]
	v_fma_f64 v[30:31], v[24:25], s[22:23], v[48:49]
	v_fma_f64 v[30:31], v[24:25], v[30:31], s[24:25]
	;; [unrolled: 1-line block ×5, first 2 shown]
	v_fma_f64 v[20:21], v[24:25], v[30:31], -v[20:21]
	v_fma_f64 v[20:21], v[35:36], s[40:41], v[20:21]
	v_add_f64 v[18:19], v[18:19], -v[20:21]
	v_and_b32_e32 v20, 1, v34
	v_cmp_eq_u32_e32 vcc, 0, v20
	v_lshlrev_b32_e32 v20, 30, v34
	v_and_b32_e32 v20, 0x80000000, v20
	v_xor_b32_e32 v19, 0x80000000, v19
	v_cndmask_b32_e32 v19, v19, v27, vcc
	v_cndmask_b32_e32 v18, v18, v26, vcc
	v_xor_b32_e32 v19, v19, v20
	v_cndmask_b32_e64 v18, 0, v18, s[6:7]
	v_cndmask_b32_e64 v19, v54, v19, s[6:7]
	v_mul_f64 v[18:19], v[22:23], v[18:19]
	s_mov_b32 s6, 0x33d43651
	s_mov_b32 s7, 0x3fe98845
	v_fma_f64 v[14:15], v[28:29], v[14:15], v[18:19]
	v_mov_b32_e32 v18, 0x100
	v_mul_f64 v[14:15], v[14:15], s[6:7]
	s_mov_b32 s6, 0
	s_brev_b32 s7, 8
	v_cmp_gt_f64_e32 vcc, s[6:7], v[16:17]
	v_cndmask_b32_e32 v18, 0, v18, vcc
	v_ldexp_f64 v[16:17], v[16:17], v18
	v_rsq_f64_e32 v[18:19], v[16:17]
	v_mul_f64 v[20:21], v[16:17], v[18:19]
	v_mul_f64 v[18:19], v[18:19], 0.5
	v_fma_f64 v[22:23], -v[18:19], v[20:21], 0.5
	v_fma_f64 v[20:21], v[20:21], v[22:23], v[20:21]
	v_fma_f64 v[18:19], v[18:19], v[22:23], v[18:19]
	v_fma_f64 v[24:25], -v[20:21], v[20:21], v[16:17]
	v_fma_f64 v[20:21], v[24:25], v[18:19], v[20:21]
	v_fma_f64 v[22:23], -v[20:21], v[20:21], v[16:17]
	v_fma_f64 v[18:19], v[22:23], v[18:19], v[20:21]
	v_mov_b32_e32 v20, 0xffffff80
	v_cndmask_b32_e32 v20, 0, v20, vcc
	v_ldexp_f64 v[18:19], v[18:19], v20
	v_mov_b32_e32 v20, 0x260
	v_cmp_class_f64_e32 vcc, v[16:17], v20
	v_cndmask_b32_e32 v17, v19, v17, vcc
	v_cndmask_b32_e32 v16, v18, v16, vcc
	v_div_scale_f64 v[18:19], s[6:7], v[16:17], v[16:17], v[14:15]
	v_rcp_f64_e32 v[20:21], v[18:19]
	v_fma_f64 v[22:23], -v[18:19], v[20:21], 1.0
	v_fma_f64 v[20:21], v[20:21], v[22:23], v[20:21]
	v_fma_f64 v[22:23], -v[18:19], v[20:21], 1.0
	v_fma_f64 v[20:21], v[20:21], v[22:23], v[20:21]
	v_div_scale_f64 v[22:23], vcc, v[14:15], v[16:17], v[14:15]
	v_mul_f64 v[24:25], v[22:23], v[20:21]
	v_fma_f64 v[18:19], -v[18:19], v[24:25], v[22:23]
	s_nop 1
	v_div_fmas_f64 v[18:19], v[18:19], v[20:21], v[24:25]
	v_div_fixup_f64 v[14:15], v[18:19], v[16:17], v[14:15]
.LBB0_51:
	s_or_b64 exec, exec, s[10:11]
.LBB0_52:
	s_or_b64 exec, exec, s[8:9]
	s_waitcnt vmcnt(0) lgkmcnt(0)
	v_add_u32_e32 v16, 0x200, v32
	v_cmp_lt_i32_e32 vcc, v16, v4
	s_and_saveexec_b64 s[8:9], vcc
	s_cbranch_execz .LBB0_74
; %bb.53:
	s_mov_b32 s6, 0
	s_mov_b32 s7, 0x40140000
	v_cmp_ge_f64_e32 vcc, s[6:7], v[8:9]
	s_and_saveexec_b64 s[6:7], vcc
	s_xor_b64 s[6:7], exec, s[6:7]
                                        ; implicit-def: $vgpr12_vgpr13
	s_cbranch_execz .LBB0_63
; %bb.54:
	v_cmp_neq_f64_e32 vcc, 0, v[8:9]
	v_mov_b32_e32 v12, 0
	v_mov_b32_e32 v13, 0xfff00000
	s_and_saveexec_b64 s[10:11], vcc
	s_cbranch_execz .LBB0_62
; %bb.55:
	v_cmp_ngt_f64_e32 vcc, 0, v[8:9]
	v_mov_b32_e32 v12, 0
	v_mov_b32_e32 v13, 0x7ff80000
	s_and_saveexec_b64 s[12:13], vcc
	s_cbranch_execz .LBB0_61
; %bb.56:
	v_mul_f64 v[12:13], v[8:9], v[8:9]
	s_mov_b32 s14, 0x88e368f1
	s_mov_b32 s15, 0x3ee4f8b5
	v_cmp_ngt_f64_e32 vcc, s[14:15], v[8:9]
                                        ; implicit-def: $vgpr16_vgpr17
	v_mul_f64 v[18:19], v[12:13], 0
	s_and_saveexec_b64 s[14:15], vcc
	s_xor_b64 s[14:15], exec, s[14:15]
	s_cbranch_execz .LBB0_58
; %bb.57:
	s_mov_b32 s16, 0xa696b78c
	s_mov_b32 s17, 0x407f3902
	v_add_f64 v[16:17], v[18:19], s[16:17]
	s_mov_b32 s16, 0x36a21a67
	s_mov_b32 s17, 0x410536cb
	;; [unrolled: 1-line block ×7, first 2 shown]
	v_fma_f64 v[16:17], v[12:13], v[16:17], s[16:17]
	s_mov_b32 s16, 0x2eac0634
	s_mov_b32 s17, 0x41871934
	;; [unrolled: 1-line block ×3, first 2 shown]
	v_fma_f64 v[16:17], v[12:13], v[16:17], s[16:17]
	s_mov_b32 s16, 0xad1c8325
	s_mov_b32 s17, 0xc1f1dc53
	v_add_f64 v[20:21], v[18:19], s[16:17]
	s_mov_b32 s16, 0xe0d900f7
	s_mov_b32 s17, 0xc2ec5614
	v_fma_f64 v[16:17], v[12:13], v[16:17], s[20:21]
	s_mov_b32 s20, 0x72182e46
	s_mov_b32 s21, 0x427ebeb3
	v_fma_f64 v[20:21], v[12:13], v[20:21], s[18:19]
	s_mov_b32 s18, 0x80462bbb
	s_mov_b32 s19, 0xc01721fb
	v_add_f64 v[22:23], v[12:13], s[18:19]
	s_mov_b32 s18, 0x69ff5fb4
	v_fma_f64 v[16:17], v[12:13], v[16:17], s[20:21]
	s_mov_b32 s20, 0xa621dd6f
	s_mov_b32 s21, 0xc03e78a4
	v_add_f64 v[24:25], v[12:13], s[20:21]
	v_fma_f64 v[20:21], v[12:13], v[20:21], s[16:17]
	s_mov_b32 s16, 0x7e7b2e9c
	s_mov_b32 s17, 0x435c4141
	;; [unrolled: 1-line block ×3, first 2 shown]
	v_fma_f64 v[16:17], v[12:13], v[16:17], s[22:23]
	v_mul_f64 v[22:23], v[22:23], v[24:25]
	v_fma_f64 v[20:21], v[12:13], v[20:21], s[18:19]
	v_fma_f64 v[16:17], v[12:13], v[16:17], s[16:17]
	s_mov_b32 s16, 0xc7b662cc
	s_mov_b32 s17, 0x43b7be34
	v_mul_f64 v[20:21], v[22:23], v[20:21]
	v_fma_f64 v[16:17], v[12:13], v[16:17], s[16:17]
	v_div_scale_f64 v[22:23], s[16:17], v[16:17], v[16:17], v[20:21]
	v_div_scale_f64 v[28:29], vcc, v[20:21], v[16:17], v[20:21]
	v_rcp_f64_e32 v[24:25], v[22:23]
	v_fma_f64 v[26:27], -v[22:23], v[24:25], 1.0
	v_fma_f64 v[24:25], v[24:25], v[26:27], v[24:25]
	v_fma_f64 v[26:27], -v[22:23], v[24:25], 1.0
	v_fma_f64 v[24:25], v[24:25], v[26:27], v[24:25]
	v_mul_f64 v[26:27], v[28:29], v[24:25]
	v_fma_f64 v[22:23], -v[22:23], v[26:27], v[28:29]
	v_div_fmas_f64 v[22:23], v[22:23], v[24:25], v[26:27]
	v_div_fixup_f64 v[16:17], v[22:23], v[16:17], v[20:21]
.LBB0_58:
	s_andn2_saveexec_b64 s[14:15], s[14:15]
	s_cbranch_execz .LBB0_60
; %bb.59:
	s_mov_b32 s16, 0
	s_mov_b32 s17, 0xbfd00000
	v_fma_f64 v[16:17], v[12:13], s[16:17], 1.0
.LBB0_60:
	s_or_b64 exec, exec, s[14:15]
	v_frexp_mant_f64_e32 v[20:21], v[8:9]
	s_mov_b32 s15, 0x3fe55555
	s_mov_b32 s14, 0x55555555
	;; [unrolled: 1-line block ×7, first 2 shown]
	v_cmp_gt_f64_e32 vcc, s[14:15], v[20:21]
	s_mov_b32 s27, 0x3fcc71c0
	s_mov_b32 s18, 0x32e48896
	;; [unrolled: 1-line block ×7, first 2 shown]
	v_cndmask_b32_e64 v22, 0, 1, vcc
	v_ldexp_f64 v[20:21], v[20:21], v22
	s_mov_b32 s25, 0x42d3ea72
	s_mov_b32 s28, 0x660b4003
	;; [unrolled: 1-line block ×3, first 2 shown]
	v_add_f64 v[22:23], v[20:21], 1.0
	v_add_f64 v[28:29], v[20:21], -1.0
	v_rcp_f64_e32 v[24:25], v[22:23]
	v_add_f64 v[30:31], v[22:23], -1.0
	v_add_f64 v[20:21], v[20:21], -v[30:31]
	v_fma_f64 v[26:27], -v[22:23], v[24:25], 1.0
	v_fma_f64 v[24:25], v[26:27], v[24:25], v[24:25]
	v_fma_f64 v[26:27], -v[22:23], v[24:25], 1.0
	v_fma_f64 v[24:25], v[26:27], v[24:25], v[24:25]
	v_mul_f64 v[26:27], v[28:29], v[24:25]
	v_mul_f64 v[34:35], v[22:23], v[26:27]
	v_fma_f64 v[22:23], v[26:27], v[22:23], -v[34:35]
	v_fma_f64 v[20:21], v[26:27], v[20:21], v[22:23]
	v_add_f64 v[22:23], v[34:35], v[20:21]
	v_add_f64 v[30:31], v[28:29], -v[22:23]
	v_add_f64 v[34:35], v[22:23], -v[34:35]
	;; [unrolled: 1-line block ×5, first 2 shown]
	v_mov_b32_e32 v28, 0x6b47b09a
	v_mov_b32_e32 v29, 0x3fc38538
	v_add_f64 v[20:21], v[20:21], v[22:23]
	v_add_f64 v[20:21], v[30:31], v[20:21]
	v_mul_f64 v[20:21], v[24:25], v[20:21]
	v_add_f64 v[22:23], v[26:27], v[20:21]
	v_mul_f64 v[24:25], v[22:23], v[22:23]
	v_fma_f64 v[28:29], v[24:25], s[16:17], v[28:29]
	s_mov_b32 s16, 0xe896898f
	s_mov_b32 s17, 0x40ce7437
	v_add_f64 v[30:31], v[18:19], s[16:17]
	s_mov_b32 s16, 0x9b27acf1
	s_mov_b32 s17, 0x3fd24924
	v_mul_f64 v[34:35], v[22:23], v[24:25]
	v_fma_f64 v[28:29], v[24:25], v[28:29], s[20:21]
	s_mov_b32 s20, 0xf0284cdd
	s_mov_b32 s21, 0x41f43f78
	v_fma_f64 v[30:31], v[12:13], v[30:31], s[18:19]
	s_mov_b32 s18, 0x5164d101
	s_mov_b32 s19, 0x41b00763
	;; [unrolled: 3-line block ×3, first 2 shown]
	v_fma_f64 v[30:31], v[12:13], v[30:31], s[20:21]
	v_fma_f64 v[28:29], v[24:25], v[28:29], s[16:17]
	s_mov_b32 s16, 0x576dfcb6
	s_mov_b32 s17, 0x40904522
	v_add_f64 v[18:19], v[18:19], s[16:17]
	s_mov_b32 s16, 0x998ef7b6
	s_mov_b32 s17, 0x3fd99999
	v_fma_f64 v[28:29], v[24:25], v[28:29], s[16:17]
	s_mov_b32 s16, 0xa907bc0c
	s_mov_b32 s17, 0x41231b76
	v_fma_f64 v[18:19], v[12:13], v[18:19], s[16:17]
	;; [unrolled: 3-line block ×3, first 2 shown]
	v_fma_f64 v[28:29], v[12:13], v[30:31], s[22:23]
	v_ldexp_f64 v[30:31], v[22:23], 1
	v_fma_f64 v[18:19], v[12:13], v[18:19], s[18:19]
	s_mov_b32 s14, 0x2b8664bc
	s_mov_b32 s15, 0x42341ddb
	v_add_f64 v[22:23], v[22:23], -v[26:27]
	s_mov_b32 s18, 0xdfeb596d
	v_mul_f64 v[24:25], v[34:35], v[24:25]
	v_frexp_exp_i32_f64_e32 v34, v[8:9]
	s_mov_b32 s19, 0x43268910
	v_fma_f64 v[8:9], v[12:13], v[18:19], s[14:15]
	v_fma_f64 v[18:19], v[12:13], v[28:29], s[24:25]
	s_mov_b32 s14, 0xfefa39ef
	s_mov_b32 s15, 0x3fe62e42
	v_add_f64 v[20:21], v[20:21], -v[22:23]
	v_add_f64 v[26:27], v[30:31], v[24:25]
	v_subbrev_co_u32_e32 v28, vcc, 0, v34, vcc
	v_cvt_f64_i32_e32 v[28:29], v28
	v_fma_f64 v[8:9], v[12:13], v[8:9], s[16:17]
	v_fma_f64 v[18:19], v[12:13], v[18:19], s[26:27]
	s_mov_b32 s16, 0xbcf9b5d0
	v_mul_f64 v[34:35], v[28:29], s[14:15]
	v_add_f64 v[22:23], v[26:27], -v[30:31]
	v_ldexp_f64 v[20:21], v[20:21], 1
	s_mov_b32 s17, 0x438bd25f
	v_fma_f64 v[8:9], v[12:13], v[8:9], s[18:19]
	v_fma_f64 v[18:19], v[12:13], v[18:19], s[28:29]
	v_fma_f64 v[30:31], v[28:29], s[14:15], -v[34:35]
	v_add_f64 v[22:23], v[24:25], -v[22:23]
	s_mov_b32 s14, 0x5906367b
	s_mov_b32 s15, 0xc3506d4b
	v_fma_f64 v[8:9], v[12:13], v[8:9], s[16:17]
	v_fma_f64 v[12:13], v[12:13], v[18:19], s[14:15]
	s_mov_b32 s14, 0x3b39803f
	s_mov_b32 s15, 0x3c7abc9e
	v_fma_f64 v[18:19], v[28:29], s[14:15], v[30:31]
	v_add_f64 v[20:21], v[20:21], v[22:23]
	v_div_scale_f64 v[22:23], s[14:15], v[8:9], v[8:9], v[12:13]
	s_mov_b32 s14, 0x6dc9c883
	v_add_f64 v[24:25], v[34:35], v[18:19]
	v_add_f64 v[28:29], v[26:27], v[20:21]
	s_mov_b32 s15, 0x3fe45f30
	v_add_f64 v[34:35], v[24:25], -v[34:35]
	v_add_f64 v[30:31], v[24:25], v[28:29]
	v_add_f64 v[26:27], v[28:29], -v[26:27]
	v_rcp_f64_e32 v[36:37], v[22:23]
	v_add_f64 v[18:19], v[18:19], -v[34:35]
	v_add_f64 v[38:39], v[30:31], -v[24:25]
	;; [unrolled: 1-line block ×5, first 2 shown]
	v_add_f64 v[34:35], v[18:19], v[20:21]
	v_fma_f64 v[50:51], -v[22:23], v[36:37], 1.0
	v_add_f64 v[24:25], v[24:25], -v[48:49]
	v_add_f64 v[38:39], v[34:35], -v[18:19]
	v_fma_f64 v[28:29], v[36:37], v[50:51], v[36:37]
	v_div_scale_f64 v[36:37], vcc, v[12:13], v[8:9], v[12:13]
	v_add_f64 v[24:25], v[26:27], v[24:25]
	v_add_f64 v[20:21], v[20:21], -v[38:39]
	v_fma_f64 v[26:27], -v[22:23], v[28:29], 1.0
	v_add_f64 v[24:25], v[34:35], v[24:25]
	v_fma_f64 v[26:27], v[28:29], v[26:27], v[28:29]
	v_add_f64 v[28:29], v[34:35], -v[38:39]
	v_add_f64 v[34:35], v[30:31], v[24:25]
	v_mul_f64 v[48:49], v[36:37], v[26:27]
	v_add_f64 v[18:19], v[18:19], -v[28:29]
	v_add_f64 v[28:29], v[34:35], -v[30:31]
	v_fma_f64 v[22:23], -v[22:23], v[48:49], v[36:37]
	v_add_f64 v[18:19], v[20:21], v[18:19]
	v_add_f64 v[20:21], v[24:25], -v[28:29]
	v_div_fmas_f64 v[22:23], v[22:23], v[26:27], v[48:49]
	v_add_f64 v[18:19], v[18:19], v[20:21]
	v_add_f64 v[18:19], v[34:35], v[18:19]
	v_div_fixup_f64 v[8:9], v[22:23], v[8:9], v[12:13]
	v_mul_f64 v[12:13], v[18:19], s[14:15]
	v_fma_f64 v[12:13], v[12:13], v[16:17], v[8:9]
.LBB0_61:
	s_or_b64 exec, exec, s[12:13]
.LBB0_62:
	s_or_b64 exec, exec, s[10:11]
                                        ; implicit-def: $vgpr8_vgpr9
.LBB0_63:
	s_andn2_saveexec_b64 s[10:11], s[6:7]
	s_cbranch_execz .LBB0_73
; %bb.64:
	s_mov_b32 s15, 0xbfe921fb
	s_mov_b32 s14, 0x54442d18
	v_add_f64 v[12:13], v[8:9], s[14:15]
	s_mov_b32 s6, 0
	s_mov_b32 s7, 0x41d00000
                                        ; implicit-def: $vgpr31
                                        ; implicit-def: $vgpr20_vgpr21
                                        ; implicit-def: $vgpr22_vgpr23
	v_trig_preop_f64 v[28:29], |v[12:13]|, 0
	v_trig_preop_f64 v[26:27], |v[12:13]|, 1
	;; [unrolled: 1-line block ×3, first 2 shown]
	v_cmp_nlt_f64_e64 s[12:13], |v[12:13]|, s[6:7]
	s_and_saveexec_b64 s[6:7], s[12:13]
	s_xor_b64 s[16:17], exec, s[6:7]
	s_cbranch_execz .LBB0_66
; %bb.65:
	s_mov_b32 s6, 0
	s_mov_b32 s7, 0x7b000000
	s_movk_i32 s15, 0xff80
	v_ldexp_f64 v[16:17], |v[12:13]|, s15
	v_cmp_ge_f64_e64 vcc, |v[12:13]|, s[6:7]
	v_and_b32_e32 v18, 0x7fffffff, v13
	s_mov_b32 s6, 0
	s_mov_b32 s7, 0x7ff00000
	v_mov_b32_e32 v53, 0x40100000
	v_mov_b32_e32 v52, 0
	s_mov_b32 s15, 0x3ff921fb
	v_cndmask_b32_e32 v17, v18, v17, vcc
	v_cndmask_b32_e32 v16, v12, v16, vcc
	v_mul_f64 v[18:19], v[28:29], v[16:17]
	v_mul_f64 v[20:21], v[26:27], v[16:17]
	;; [unrolled: 1-line block ×3, first 2 shown]
	v_fma_f64 v[22:23], v[28:29], v[16:17], -v[18:19]
	v_fma_f64 v[48:49], v[26:27], v[16:17], -v[20:21]
	;; [unrolled: 1-line block ×3, first 2 shown]
	v_add_f64 v[30:31], v[20:21], v[22:23]
	v_add_f64 v[34:35], v[30:31], -v[20:21]
	v_add_f64 v[50:51], v[18:19], v[30:31]
	v_add_f64 v[36:37], v[30:31], -v[34:35]
	v_add_f64 v[22:23], v[22:23], -v[34:35]
	v_add_f64 v[34:35], v[38:39], v[48:49]
	v_add_f64 v[18:19], v[50:51], -v[18:19]
	v_add_f64 v[20:21], v[20:21], -v[36:37]
	v_ldexp_f64 v[36:37], v[50:51], -2
	v_add_f64 v[54:55], v[34:35], -v[38:39]
	v_add_f64 v[18:19], v[30:31], -v[18:19]
	v_add_f64 v[20:21], v[22:23], v[20:21]
	v_fract_f64_e32 v[22:23], v[36:37]
	v_cmp_neq_f64_e64 vcc, |v[36:37]|, s[6:7]
	v_add_f64 v[48:49], v[48:49], -v[54:55]
	v_add_f64 v[30:31], v[34:35], v[20:21]
	v_ldexp_f64 v[22:23], v[22:23], 2
	v_add_f64 v[36:37], v[18:19], v[30:31]
	v_cndmask_b32_e32 v23, 0, v23, vcc
	v_cndmask_b32_e32 v22, 0, v22, vcc
	v_add_f64 v[64:65], v[30:31], -v[34:35]
	v_add_f64 v[50:51], v[36:37], v[22:23]
	v_add_f64 v[18:19], v[36:37], -v[18:19]
	v_add_f64 v[66:67], v[30:31], -v[64:65]
	v_add_f64 v[20:21], v[20:21], -v[64:65]
	v_cmp_gt_f64_e32 vcc, 0, v[50:51]
	v_add_f64 v[50:51], v[34:35], -v[54:55]
	v_add_f64 v[18:19], v[30:31], -v[18:19]
	;; [unrolled: 1-line block ×3, first 2 shown]
	v_cndmask_b32_e32 v53, 0, v53, vcc
	v_add_f64 v[22:23], v[22:23], v[52:53]
	v_add_f64 v[50:51], v[38:39], -v[50:51]
	v_add_f64 v[20:21], v[20:21], v[34:35]
	v_add_f64 v[68:69], v[36:37], v[22:23]
	;; [unrolled: 1-line block ×3, first 2 shown]
	v_cvt_i32_f64_e32 v55, v[68:69]
	v_add_f64 v[20:21], v[48:49], v[20:21]
	v_cvt_f64_i32_e32 v[53:54], v55
	v_add_f64 v[22:23], v[22:23], -v[53:54]
	v_add_f64 v[16:17], v[16:17], v[20:21]
	v_add_f64 v[34:35], v[36:37], v[22:23]
	;; [unrolled: 1-line block ×3, first 2 shown]
	v_add_f64 v[20:21], v[34:35], -v[22:23]
	v_cmp_le_f64_e32 vcc, 0.5, v[34:35]
	v_add_f64 v[18:19], v[36:37], -v[20:21]
	v_mov_b32_e32 v20, 0x3ff00000
	v_cndmask_b32_e32 v53, 0, v20, vcc
	v_addc_co_u32_e64 v31, s[6:7], 0, v55, vcc
	s_mov_b32 s6, 0x33145c07
	s_mov_b32 s7, 0x3c91a626
	v_add_f64 v[16:17], v[16:17], v[18:19]
	v_add_f64 v[18:19], v[34:35], -v[52:53]
	v_add_f64 v[20:21], v[18:19], v[16:17]
	v_mul_f64 v[22:23], v[20:21], s[14:15]
	v_add_f64 v[18:19], v[20:21], -v[18:19]
	v_fma_f64 v[34:35], v[20:21], s[14:15], -v[22:23]
	v_add_f64 v[16:17], v[16:17], -v[18:19]
	v_fma_f64 v[18:19], v[20:21], s[6:7], v[34:35]
	v_fma_f64 v[16:17], v[16:17], s[14:15], v[18:19]
	v_add_f64 v[20:21], v[22:23], v[16:17]
	v_add_f64 v[18:19], v[20:21], -v[22:23]
	v_add_f64 v[22:23], v[16:17], -v[18:19]
	s_andn2_saveexec_b64 s[6:7], s[16:17]
	s_cbranch_execz .LBB0_68
	s_branch .LBB0_67
.LBB0_66:
	s_andn2_saveexec_b64 s[6:7], s[16:17]
	s_cbranch_execz .LBB0_68
.LBB0_67:
	s_mov_b32 s14, 0x6dc9c883
	s_mov_b32 s15, 0x3fe45f30
	v_mul_f64 v[16:17], |v[12:13]|, s[14:15]
	s_mov_b32 s14, 0x54442d18
	s_mov_b32 s15, 0xbff921fb
	;; [unrolled: 1-line block ×4, first 2 shown]
	v_rndne_f64_e32 v[16:17], v[16:17]
	v_fma_f64 v[18:19], v[16:17], s[14:15], |v[12:13]|
	v_mul_f64 v[20:21], v[16:17], s[16:17]
	s_mov_b32 s14, 0x252049c0
	s_mov_b32 s15, 0xb97b839a
	v_add_f64 v[22:23], v[18:19], v[20:21]
	v_add_f64 v[30:31], v[18:19], -v[22:23]
	v_fma_f64 v[18:19], v[16:17], s[16:17], v[18:19]
	s_mov_b32 s17, 0x3c91a626
	v_add_f64 v[30:31], v[30:31], v[20:21]
	v_add_f64 v[22:23], v[22:23], -v[18:19]
	v_fma_f64 v[20:21], v[16:17], s[16:17], v[20:21]
	v_add_f64 v[22:23], v[22:23], v[30:31]
	v_cvt_i32_f64_e32 v31, v[16:17]
	v_add_f64 v[20:21], v[22:23], -v[20:21]
	v_fma_f64 v[22:23], v[16:17], s[14:15], v[20:21]
	v_add_f64 v[20:21], v[18:19], v[22:23]
	v_add_f64 v[18:19], v[20:21], -v[18:19]
	v_add_f64 v[22:23], v[22:23], -v[18:19]
.LBB0_68:
	s_or_b64 exec, exec, s[6:7]
                                        ; implicit-def: $vgpr30
                                        ; implicit-def: $vgpr16_vgpr17
                                        ; implicit-def: $vgpr18_vgpr19
	s_and_saveexec_b64 s[6:7], s[12:13]
	s_xor_b64 s[12:13], exec, s[6:7]
	s_cbranch_execz .LBB0_70
; %bb.69:
	s_mov_b32 s6, 0
	s_mov_b32 s7, 0x7b000000
	s_movk_i32 s14, 0xff80
	v_ldexp_f64 v[16:17], |v[12:13]|, s14
	v_cmp_ge_f64_e64 vcc, |v[12:13]|, s[6:7]
	v_and_b32_e32 v18, 0x7fffffff, v13
	s_mov_b32 s6, 0
	s_mov_b32 s7, 0x7ff00000
	v_mov_b32_e32 v30, 0x40100000
	v_mov_b32_e32 v54, 0
	s_mov_b32 s14, 0x33145c07
	s_mov_b32 s15, 0x3c91a626
	v_cndmask_b32_e32 v17, v18, v17, vcc
	v_cndmask_b32_e32 v16, v12, v16, vcc
	v_mul_f64 v[18:19], v[28:29], v[16:17]
	v_mul_f64 v[34:35], v[26:27], v[16:17]
	;; [unrolled: 1-line block ×3, first 2 shown]
	v_fma_f64 v[28:29], v[28:29], v[16:17], -v[18:19]
	v_fma_f64 v[26:27], v[26:27], v[16:17], -v[34:35]
	;; [unrolled: 1-line block ×3, first 2 shown]
	v_add_f64 v[36:37], v[34:35], v[28:29]
	v_add_f64 v[38:39], v[36:37], -v[34:35]
	v_add_f64 v[52:53], v[18:19], v[36:37]
	v_add_f64 v[48:49], v[36:37], -v[38:39]
	v_add_f64 v[28:29], v[28:29], -v[38:39]
	v_add_f64 v[38:39], v[50:51], v[26:27]
	v_add_f64 v[18:19], v[52:53], -v[18:19]
	v_add_f64 v[34:35], v[34:35], -v[48:49]
	v_ldexp_f64 v[48:49], v[52:53], -2
	v_add_f64 v[64:65], v[38:39], -v[50:51]
	v_add_f64 v[18:19], v[36:37], -v[18:19]
	v_add_f64 v[28:29], v[28:29], v[34:35]
	v_fract_f64_e32 v[34:35], v[48:49]
	v_cmp_neq_f64_e64 vcc, |v[48:49]|, s[6:7]
	v_add_f64 v[26:27], v[26:27], -v[64:65]
	v_add_f64 v[36:37], v[38:39], v[28:29]
	v_ldexp_f64 v[34:35], v[34:35], 2
	v_add_f64 v[48:49], v[18:19], v[36:37]
	v_cndmask_b32_e32 v35, 0, v35, vcc
	v_cndmask_b32_e32 v34, 0, v34, vcc
	v_add_f64 v[66:67], v[36:37], -v[38:39]
	v_add_f64 v[52:53], v[48:49], v[34:35]
	v_add_f64 v[18:19], v[48:49], -v[18:19]
	v_add_f64 v[68:69], v[36:37], -v[66:67]
	;; [unrolled: 1-line block ×3, first 2 shown]
	v_cmp_gt_f64_e32 vcc, 0, v[52:53]
	v_add_f64 v[52:53], v[38:39], -v[64:65]
	v_add_f64 v[18:19], v[36:37], -v[18:19]
	;; [unrolled: 1-line block ×3, first 2 shown]
	v_cndmask_b32_e32 v55, 0, v30, vcc
	v_add_f64 v[34:35], v[34:35], v[54:55]
	v_add_f64 v[52:53], v[50:51], -v[52:53]
	v_add_f64 v[28:29], v[28:29], v[38:39]
	v_add_f64 v[70:71], v[48:49], v[34:35]
	;; [unrolled: 1-line block ×3, first 2 shown]
	v_cvt_i32_f64_e32 v30, v[70:71]
	v_add_f64 v[24:25], v[26:27], v[28:29]
	v_cvt_f64_i32_e32 v[64:65], v30
	v_add_f64 v[34:35], v[34:35], -v[64:65]
	v_add_f64 v[16:17], v[16:17], v[24:25]
	v_add_f64 v[26:27], v[48:49], v[34:35]
	;; [unrolled: 1-line block ×3, first 2 shown]
	v_add_f64 v[24:25], v[26:27], -v[34:35]
	v_cmp_le_f64_e32 vcc, 0.5, v[26:27]
	v_add_f64 v[18:19], v[48:49], -v[24:25]
	v_mov_b32_e32 v24, 0x3ff00000
	v_cndmask_b32_e32 v55, 0, v24, vcc
	v_addc_co_u32_e64 v30, s[6:7], 0, v30, vcc
	s_mov_b32 s6, 0x54442d18
	s_mov_b32 s7, 0x3ff921fb
	v_add_f64 v[16:17], v[16:17], v[18:19]
	v_add_f64 v[18:19], v[26:27], -v[54:55]
	v_add_f64 v[24:25], v[18:19], v[16:17]
	v_mul_f64 v[26:27], v[24:25], s[6:7]
	v_add_f64 v[18:19], v[24:25], -v[18:19]
	v_fma_f64 v[28:29], v[24:25], s[6:7], -v[26:27]
	v_add_f64 v[16:17], v[16:17], -v[18:19]
	v_fma_f64 v[18:19], v[24:25], s[14:15], v[28:29]
	v_fma_f64 v[18:19], v[16:17], s[6:7], v[18:19]
	v_add_f64 v[16:17], v[26:27], v[18:19]
	v_add_f64 v[24:25], v[16:17], -v[26:27]
	v_add_f64 v[18:19], v[18:19], -v[24:25]
	s_andn2_saveexec_b64 s[6:7], s[12:13]
	s_cbranch_execnz .LBB0_71
	s_branch .LBB0_72
.LBB0_70:
	s_andn2_saveexec_b64 s[6:7], s[12:13]
	s_cbranch_execz .LBB0_72
.LBB0_71:
	s_mov_b32 s12, 0x6dc9c883
	s_mov_b32 s13, 0x3fe45f30
	v_mul_f64 v[16:17], |v[12:13]|, s[12:13]
	s_mov_b32 s12, 0x54442d18
	s_mov_b32 s13, 0xbff921fb
	;; [unrolled: 1-line block ×4, first 2 shown]
	v_rndne_f64_e32 v[24:25], v[16:17]
	v_fma_f64 v[16:17], v[24:25], s[12:13], |v[12:13]|
	v_mul_f64 v[18:19], v[24:25], s[14:15]
	s_mov_b32 s12, 0x252049c0
	s_mov_b32 s13, 0xb97b839a
	v_cvt_i32_f64_e32 v30, v[24:25]
	v_fma_f64 v[34:35], v[24:25], s[14:15], v[16:17]
	v_add_f64 v[26:27], v[16:17], v[18:19]
	s_mov_b32 s15, 0x3c91a626
	v_add_f64 v[28:29], v[16:17], -v[26:27]
	v_add_f64 v[26:27], v[26:27], -v[34:35]
	v_add_f64 v[16:17], v[28:29], v[18:19]
	v_fma_f64 v[18:19], v[24:25], s[14:15], v[18:19]
	v_add_f64 v[16:17], v[26:27], v[16:17]
	v_add_f64 v[16:17], v[16:17], -v[18:19]
	v_fma_f64 v[18:19], v[24:25], s[12:13], v[16:17]
	v_add_f64 v[16:17], v[34:35], v[18:19]
	v_add_f64 v[26:27], v[16:17], -v[34:35]
	v_add_f64 v[18:19], v[18:19], -v[26:27]
.LBB0_72:
	s_or_b64 exec, exec, s[6:7]
	v_mul_f64 v[24:25], v[8:9], v[8:9]
	s_mov_b32 s6, 0
	s_mov_b32 s7, 0x40390000
	;; [unrolled: 1-line block ×7, first 2 shown]
	v_div_scale_f64 v[26:27], s[12:13], v[24:25], v[24:25], s[6:7]
	s_mov_b32 s12, 0x46cc5e42
	s_mov_b32 s13, 0xbda907db
	;; [unrolled: 1-line block ×13, first 2 shown]
	v_mul_f64 v[54:55], v[22:23], 0.5
	v_rcp_f64_e32 v[28:29], v[26:27]
	s_mov_b32 s41, 0xbfc55555
	s_mov_b32 s40, s20
	;; [unrolled: 1-line block ×4, first 2 shown]
	v_fma_f64 v[34:35], -v[26:27], v[28:29], 1.0
	v_fma_f64 v[28:29], v[28:29], v[34:35], v[28:29]
	v_fma_f64 v[34:35], -v[26:27], v[28:29], 1.0
	v_fma_f64 v[28:29], v[28:29], v[34:35], v[28:29]
	v_div_scale_f64 v[34:35], vcc, s[6:7], v[24:25], s[6:7]
	v_mul_f64 v[36:37], v[34:35], v[28:29]
	v_fma_f64 v[26:27], -v[26:27], v[36:37], v[34:35]
	s_nop 1
	v_div_fmas_f64 v[26:27], v[26:27], v[28:29], v[36:37]
	v_mov_b32_e32 v36, 0x413c25ac
	v_mov_b32_e32 v37, 0x40501457
	v_div_fixup_f64 v[26:27], v[26:27], v[24:25], s[6:7]
	v_mov_b32_e32 v24, 0x983b6b27
	v_mov_b32_e32 v25, 0x3f4a1d30
	s_mov_b32 s6, 0xb35dd1cf
	s_mov_b32 s7, 0x3fb534b0
	v_fma_f64 v[24:25], v[26:27], 0, v[24:25]
	v_fma_f64 v[36:37], v[26:27], 0, v[36:37]
	;; [unrolled: 1-line block ×3, first 2 shown]
	s_mov_b32 s6, 0x4e680b98
	s_mov_b32 s7, 0x3ff3d521
	v_fma_f64 v[24:25], v[26:27], v[24:25], s[6:7]
	s_mov_b32 s6, 0xe97a0956
	s_mov_b32 s7, 0x4015c9fb
	v_fma_f64 v[24:25], v[26:27], v[24:25], s[6:7]
	;; [unrolled: 3-line block ×4, first 2 shown]
	v_mov_b32_e32 v24, 0xce039737
	v_mov_b32_e32 v25, 0x3f4e4a80
	v_fma_f64 v[24:25], v[26:27], 0, v[24:25]
	s_mov_b32 s6, 0xab5454e3
	s_mov_b32 s7, 0x3fb5ebc5
	v_fma_f64 v[24:25], v[26:27], v[24:25], s[6:7]
	s_mov_b32 s6, 0xc9b3069f
	s_mov_b32 s7, 0x3ff40e72
	;; [unrolled: 3-line block ×6, first 2 shown]
	v_fma_f64 v[34:35], v[26:27], v[24:25], 1.0
	v_mov_b32_e32 v24, 0x38a5384a
	v_mov_b32_e32 v25, 0xbf874742
	v_fma_f64 v[24:25], v[26:27], 0, v[24:25]
	v_fma_f64 v[24:25], v[26:27], v[24:25], s[6:7]
	s_mov_b32 s6, 0xf50e2c0c
	s_mov_b32 s7, 0xc0338dcf
	v_fma_f64 v[24:25], v[26:27], v[24:25], s[6:7]
	s_mov_b32 s6, 0x5a6de8c4
	s_mov_b32 s7, 0xc0574d2f
	;; [unrolled: 3-line block ×12, first 2 shown]
	v_fma_f64 v[36:37], v[26:27], v[36:37], s[6:7]
	v_fma_f64 v[26:27], v[26:27], v[28:29], 1.0
	v_div_scale_f64 v[28:29], s[6:7], v[34:35], v[34:35], v[26:27]
	s_mov_b32 s6, 0x9037ab78
	s_mov_b32 s7, 0x3e21eeb6
	v_rcp_f64_e32 v[38:39], v[28:29]
	v_fma_f64 v[48:49], -v[28:29], v[38:39], 1.0
	v_fma_f64 v[38:39], v[38:39], v[48:49], v[38:39]
	v_fma_f64 v[48:49], -v[28:29], v[38:39], 1.0
	v_fma_f64 v[38:39], v[38:39], v[48:49], v[38:39]
	v_div_scale_f64 v[48:49], vcc, v[26:27], v[34:35], v[26:27]
	v_mul_f64 v[50:51], v[48:49], v[38:39]
	v_fma_f64 v[28:29], -v[28:29], v[50:51], v[48:49]
	s_nop 1
	v_div_fmas_f64 v[28:29], v[28:29], v[38:39], v[50:51]
	v_mov_b32_e32 v51, s7
	v_mov_b32_e32 v50, s6
	s_mov_b32 s6, 0xb42fdfa7
	s_mov_b32 s7, 0xbe5ae600
	v_div_fixup_f64 v[26:27], v[28:29], v[34:35], v[26:27]
	v_mul_f64 v[28:29], v[20:21], v[20:21]
	v_mul_f64 v[34:35], v[28:29], 0.5
	v_fma_f64 v[52:53], v[28:29], s[12:13], v[50:51]
	v_add_f64 v[38:39], -v[34:35], 1.0
	v_fma_f64 v[52:53], v[28:29], v[52:53], s[14:15]
	v_add_f64 v[48:49], -v[38:39], 1.0
	v_fma_f64 v[52:53], v[28:29], v[52:53], s[16:17]
	v_add_f64 v[34:35], v[48:49], -v[34:35]
	v_fma_f64 v[52:53], v[28:29], v[52:53], s[18:19]
	v_mul_f64 v[48:49], v[28:29], v[28:29]
	v_fma_f64 v[34:35], v[20:21], -v[22:23], v[34:35]
	v_fma_f64 v[52:53], v[28:29], v[52:53], s[20:21]
	v_fma_f64 v[34:35], v[48:49], v[52:53], v[34:35]
	v_mul_f64 v[52:53], v[20:21], -v[28:29]
	v_add_f64 v[34:35], v[38:39], v[34:35]
	v_mov_b32_e32 v39, s7
	v_mov_b32_e32 v38, s6
	v_fma_f64 v[48:49], v[28:29], s[22:23], v[38:39]
	s_movk_i32 s6, 0x1f8
	v_cmp_class_f64_e64 s[6:7], v[12:13], s6
	v_fma_f64 v[48:49], v[28:29], v[48:49], s[24:25]
	v_fma_f64 v[48:49], v[28:29], v[48:49], s[26:27]
	;; [unrolled: 1-line block ×4, first 2 shown]
	v_fma_f64 v[22:23], v[28:29], v[48:49], -v[22:23]
	v_fma_f64 v[22:23], v[52:53], s[40:41], v[22:23]
	v_add_f64 v[20:21], v[20:21], -v[22:23]
	v_and_b32_e32 v22, 1, v31
	v_cmp_eq_u32_e32 vcc, 0, v22
	v_lshlrev_b32_e32 v22, 30, v31
	v_xor_b32_e32 v22, v22, v13
	v_and_b32_e32 v22, 0x80000000, v22
	v_mov_b32_e32 v31, 0x7ff80000
	v_cndmask_b32_e32 v21, v35, v21, vcc
	v_cndmask_b32_e32 v20, v34, v20, vcc
	v_xor_b32_e32 v21, v21, v22
	v_cndmask_b32_e64 v12, 0, v20, s[6:7]
	v_cndmask_b32_e64 v13, v31, v21, s[6:7]
	v_div_scale_f64 v[20:21], s[46:47], v[8:9], v[8:9], s[44:45]
	v_rcp_f64_e32 v[22:23], v[20:21]
	v_fma_f64 v[28:29], -v[20:21], v[22:23], 1.0
	v_fma_f64 v[22:23], v[22:23], v[28:29], v[22:23]
	v_fma_f64 v[28:29], -v[20:21], v[22:23], 1.0
	v_fma_f64 v[22:23], v[22:23], v[28:29], v[22:23]
	v_div_scale_f64 v[28:29], vcc, s[44:45], v[8:9], s[44:45]
	v_mul_f64 v[34:35], v[28:29], v[22:23]
	v_fma_f64 v[20:21], -v[20:21], v[34:35], v[28:29]
	s_nop 1
	v_div_fmas_f64 v[20:21], v[20:21], v[22:23], v[34:35]
	v_div_fixup_f64 v[20:21], v[20:21], v[8:9], s[44:45]
	v_div_scale_f64 v[22:23], s[44:45], v[36:37], v[36:37], v[24:25]
	v_rcp_f64_e32 v[28:29], v[22:23]
	v_fma_f64 v[34:35], -v[22:23], v[28:29], 1.0
	v_fma_f64 v[28:29], v[28:29], v[34:35], v[28:29]
	v_fma_f64 v[34:35], -v[22:23], v[28:29], 1.0
	v_fma_f64 v[28:29], v[28:29], v[34:35], v[28:29]
	v_div_scale_f64 v[34:35], vcc, v[24:25], v[36:37], v[24:25]
	v_mul_f64 v[48:49], v[34:35], v[28:29]
	v_fma_f64 v[22:23], -v[22:23], v[48:49], v[34:35]
	s_nop 1
	v_div_fmas_f64 v[22:23], v[22:23], v[28:29], v[48:49]
	v_div_fixup_f64 v[22:23], v[22:23], v[36:37], v[24:25]
	v_mul_f64 v[20:21], v[20:21], v[22:23]
	v_mul_f64 v[22:23], v[16:17], v[16:17]
	v_mul_f64 v[24:25], v[22:23], 0.5
	v_fma_f64 v[36:37], v[22:23], s[12:13], v[50:51]
	v_add_f64 v[28:29], -v[24:25], 1.0
	v_fma_f64 v[36:37], v[22:23], v[36:37], s[14:15]
	v_add_f64 v[34:35], -v[28:29], 1.0
	v_fma_f64 v[36:37], v[22:23], v[36:37], s[16:17]
	v_add_f64 v[24:25], v[34:35], -v[24:25]
	v_fma_f64 v[36:37], v[22:23], v[36:37], s[18:19]
	v_mul_f64 v[34:35], v[22:23], v[22:23]
	v_fma_f64 v[24:25], v[16:17], -v[18:19], v[24:25]
	v_fma_f64 v[36:37], v[22:23], v[36:37], s[20:21]
	v_fma_f64 v[24:25], v[34:35], v[36:37], v[24:25]
	v_mul_f64 v[34:35], v[16:17], -v[22:23]
	v_mul_f64 v[36:37], v[18:19], 0.5
	v_add_f64 v[24:25], v[28:29], v[24:25]
	v_fma_f64 v[28:29], v[22:23], s[22:23], v[38:39]
	v_fma_f64 v[28:29], v[22:23], v[28:29], s[24:25]
	;; [unrolled: 1-line block ×5, first 2 shown]
	v_fma_f64 v[18:19], v[22:23], v[28:29], -v[18:19]
	v_fma_f64 v[18:19], v[34:35], s[40:41], v[18:19]
	v_add_f64 v[16:17], v[16:17], -v[18:19]
	v_and_b32_e32 v18, 1, v30
	v_cmp_eq_u32_e32 vcc, 0, v18
	v_lshlrev_b32_e32 v18, 30, v30
	v_and_b32_e32 v18, 0x80000000, v18
	v_xor_b32_e32 v17, 0x80000000, v17
	v_cndmask_b32_e32 v17, v17, v25, vcc
	v_cndmask_b32_e32 v16, v16, v24, vcc
	v_xor_b32_e32 v17, v17, v18
	v_cndmask_b32_e64 v16, 0, v16, s[6:7]
	v_cndmask_b32_e64 v17, v31, v17, s[6:7]
	v_mul_f64 v[16:17], v[20:21], v[16:17]
	s_mov_b32 s6, 0x33d43651
	s_mov_b32 s7, 0x3fe98845
	v_fma_f64 v[12:13], v[26:27], v[12:13], v[16:17]
	v_mov_b32_e32 v16, 0x100
	v_mul_f64 v[12:13], v[12:13], s[6:7]
	s_mov_b32 s6, 0
	s_brev_b32 s7, 8
	v_cmp_gt_f64_e32 vcc, s[6:7], v[8:9]
	v_cndmask_b32_e32 v16, 0, v16, vcc
	v_ldexp_f64 v[8:9], v[8:9], v16
	v_rsq_f64_e32 v[16:17], v[8:9]
	v_mul_f64 v[18:19], v[8:9], v[16:17]
	v_mul_f64 v[16:17], v[16:17], 0.5
	v_fma_f64 v[20:21], -v[16:17], v[18:19], 0.5
	v_fma_f64 v[18:19], v[18:19], v[20:21], v[18:19]
	v_fma_f64 v[16:17], v[16:17], v[20:21], v[16:17]
	v_fma_f64 v[22:23], -v[18:19], v[18:19], v[8:9]
	v_fma_f64 v[18:19], v[22:23], v[16:17], v[18:19]
	v_fma_f64 v[20:21], -v[18:19], v[18:19], v[8:9]
	v_fma_f64 v[16:17], v[20:21], v[16:17], v[18:19]
	v_mov_b32_e32 v18, 0xffffff80
	v_cndmask_b32_e32 v18, 0, v18, vcc
	v_ldexp_f64 v[16:17], v[16:17], v18
	v_mov_b32_e32 v18, 0x260
	v_cmp_class_f64_e32 vcc, v[8:9], v18
	v_cndmask_b32_e32 v9, v17, v9, vcc
	v_cndmask_b32_e32 v8, v16, v8, vcc
	v_div_scale_f64 v[16:17], s[6:7], v[8:9], v[8:9], v[12:13]
	v_rcp_f64_e32 v[18:19], v[16:17]
	v_fma_f64 v[20:21], -v[16:17], v[18:19], 1.0
	v_fma_f64 v[18:19], v[18:19], v[20:21], v[18:19]
	v_fma_f64 v[20:21], -v[16:17], v[18:19], 1.0
	v_fma_f64 v[18:19], v[18:19], v[20:21], v[18:19]
	v_div_scale_f64 v[20:21], vcc, v[12:13], v[8:9], v[12:13]
	v_mul_f64 v[22:23], v[20:21], v[18:19]
	v_fma_f64 v[16:17], -v[16:17], v[22:23], v[20:21]
	s_nop 1
	v_div_fmas_f64 v[16:17], v[16:17], v[18:19], v[22:23]
	v_div_fixup_f64 v[12:13], v[16:17], v[8:9], v[12:13]
.LBB0_73:
	s_or_b64 exec, exec, s[10:11]
.LBB0_74:
	s_or_b64 exec, exec, s[8:9]
	v_add_u32_e32 v8, 0x300, v32
	v_cmp_lt_i32_e32 vcc, v8, v4
	s_and_saveexec_b64 s[8:9], vcc
	s_cbranch_execz .LBB0_88
; %bb.75:
	s_mov_b32 s6, 0
	s_mov_b32 s7, 0x40140000
	v_cmp_ge_f64_e32 vcc, s[6:7], v[6:7]
	s_and_saveexec_b64 s[6:7], vcc
	s_xor_b64 s[6:7], exec, s[6:7]
                                        ; implicit-def: $vgpr10_vgpr11
	s_cbranch_execz .LBB0_85
; %bb.76:
	v_cmp_neq_f64_e32 vcc, 0, v[6:7]
	v_mov_b32_e32 v10, 0
	v_mov_b32_e32 v11, 0xfff00000
	s_and_saveexec_b64 s[10:11], vcc
	s_cbranch_execz .LBB0_84
; %bb.77:
	v_cmp_ngt_f64_e32 vcc, 0, v[6:7]
	v_mov_b32_e32 v10, 0
	v_mov_b32_e32 v11, 0x7ff80000
	s_and_saveexec_b64 s[12:13], vcc
	s_cbranch_execz .LBB0_83
; %bb.78:
	v_mul_f64 v[8:9], v[6:7], v[6:7]
	s_mov_b32 s14, 0x88e368f1
	s_mov_b32 s15, 0x3ee4f8b5
	v_cmp_ngt_f64_e32 vcc, s[14:15], v[6:7]
                                        ; implicit-def: $vgpr10_vgpr11
	v_mul_f64 v[16:17], v[8:9], 0
	s_and_saveexec_b64 s[14:15], vcc
	s_xor_b64 s[14:15], exec, s[14:15]
	s_cbranch_execz .LBB0_80
; %bb.79:
	s_mov_b32 s16, 0xa696b78c
	s_mov_b32 s17, 0x407f3902
	v_add_f64 v[10:11], v[16:17], s[16:17]
	s_mov_b32 s16, 0x36a21a67
	s_mov_b32 s17, 0x410536cb
	;; [unrolled: 1-line block ×7, first 2 shown]
	v_fma_f64 v[10:11], v[8:9], v[10:11], s[16:17]
	s_mov_b32 s16, 0x2eac0634
	s_mov_b32 s17, 0x41871934
	;; [unrolled: 1-line block ×3, first 2 shown]
	v_fma_f64 v[10:11], v[8:9], v[10:11], s[16:17]
	s_mov_b32 s16, 0xad1c8325
	s_mov_b32 s17, 0xc1f1dc53
	v_add_f64 v[18:19], v[16:17], s[16:17]
	s_mov_b32 s16, 0xe0d900f7
	s_mov_b32 s17, 0xc2ec5614
	v_fma_f64 v[10:11], v[8:9], v[10:11], s[20:21]
	s_mov_b32 s20, 0x72182e46
	s_mov_b32 s21, 0x427ebeb3
	v_fma_f64 v[18:19], v[8:9], v[18:19], s[18:19]
	s_mov_b32 s18, 0x80462bbb
	s_mov_b32 s19, 0xc01721fb
	v_add_f64 v[20:21], v[8:9], s[18:19]
	s_mov_b32 s18, 0x69ff5fb4
	v_fma_f64 v[10:11], v[8:9], v[10:11], s[20:21]
	s_mov_b32 s20, 0xa621dd6f
	s_mov_b32 s21, 0xc03e78a4
	v_add_f64 v[22:23], v[8:9], s[20:21]
	v_fma_f64 v[18:19], v[8:9], v[18:19], s[16:17]
	s_mov_b32 s16, 0x7e7b2e9c
	s_mov_b32 s17, 0x435c4141
	;; [unrolled: 1-line block ×3, first 2 shown]
	v_fma_f64 v[10:11], v[8:9], v[10:11], s[22:23]
	v_mul_f64 v[20:21], v[20:21], v[22:23]
	v_fma_f64 v[18:19], v[8:9], v[18:19], s[18:19]
	v_fma_f64 v[10:11], v[8:9], v[10:11], s[16:17]
	s_mov_b32 s16, 0xc7b662cc
	s_mov_b32 s17, 0x43b7be34
	v_mul_f64 v[18:19], v[20:21], v[18:19]
	v_fma_f64 v[10:11], v[8:9], v[10:11], s[16:17]
	v_div_scale_f64 v[20:21], s[16:17], v[10:11], v[10:11], v[18:19]
	v_div_scale_f64 v[26:27], vcc, v[18:19], v[10:11], v[18:19]
	v_rcp_f64_e32 v[22:23], v[20:21]
	v_fma_f64 v[24:25], -v[20:21], v[22:23], 1.0
	v_fma_f64 v[22:23], v[22:23], v[24:25], v[22:23]
	v_fma_f64 v[24:25], -v[20:21], v[22:23], 1.0
	v_fma_f64 v[22:23], v[22:23], v[24:25], v[22:23]
	v_mul_f64 v[24:25], v[26:27], v[22:23]
	v_fma_f64 v[20:21], -v[20:21], v[24:25], v[26:27]
	v_div_fmas_f64 v[20:21], v[20:21], v[22:23], v[24:25]
	v_div_fixup_f64 v[10:11], v[20:21], v[10:11], v[18:19]
.LBB0_80:
	s_andn2_saveexec_b64 s[14:15], s[14:15]
	s_cbranch_execz .LBB0_82
; %bb.81:
	s_mov_b32 s16, 0
	s_mov_b32 s17, 0xbfd00000
	v_fma_f64 v[10:11], v[8:9], s[16:17], 1.0
.LBB0_82:
	s_or_b64 exec, exec, s[14:15]
	v_frexp_mant_f64_e32 v[18:19], v[6:7]
	s_mov_b32 s15, 0x3fe55555
	s_mov_b32 s14, 0x55555555
	;; [unrolled: 1-line block ×7, first 2 shown]
	v_cmp_gt_f64_e32 vcc, s[14:15], v[18:19]
	s_mov_b32 s27, 0x3fcc71c0
	s_mov_b32 s18, 0x32e48896
	;; [unrolled: 1-line block ×7, first 2 shown]
	v_cndmask_b32_e64 v20, 0, 1, vcc
	v_ldexp_f64 v[18:19], v[18:19], v20
	s_mov_b32 s25, 0x42d3ea72
	s_mov_b32 s28, 0x660b4003
	;; [unrolled: 1-line block ×3, first 2 shown]
	v_add_f64 v[20:21], v[18:19], 1.0
	v_add_f64 v[26:27], v[18:19], -1.0
	v_rcp_f64_e32 v[22:23], v[20:21]
	v_add_f64 v[28:29], v[20:21], -1.0
	v_add_f64 v[18:19], v[18:19], -v[28:29]
	v_fma_f64 v[24:25], -v[20:21], v[22:23], 1.0
	v_fma_f64 v[22:23], v[24:25], v[22:23], v[22:23]
	v_fma_f64 v[24:25], -v[20:21], v[22:23], 1.0
	v_fma_f64 v[22:23], v[24:25], v[22:23], v[22:23]
	v_mul_f64 v[24:25], v[26:27], v[22:23]
	v_mul_f64 v[30:31], v[20:21], v[24:25]
	v_fma_f64 v[20:21], v[24:25], v[20:21], -v[30:31]
	v_fma_f64 v[18:19], v[24:25], v[18:19], v[20:21]
	v_add_f64 v[20:21], v[30:31], v[18:19]
	v_add_f64 v[28:29], v[26:27], -v[20:21]
	v_add_f64 v[30:31], v[20:21], -v[30:31]
	;; [unrolled: 1-line block ×5, first 2 shown]
	v_mov_b32_e32 v26, 0x6b47b09a
	v_mov_b32_e32 v27, 0x3fc38538
	v_add_f64 v[18:19], v[18:19], v[20:21]
	v_add_f64 v[18:19], v[28:29], v[18:19]
	v_mul_f64 v[18:19], v[22:23], v[18:19]
	v_add_f64 v[20:21], v[24:25], v[18:19]
	v_mul_f64 v[22:23], v[20:21], v[20:21]
	v_fma_f64 v[26:27], v[22:23], s[16:17], v[26:27]
	s_mov_b32 s16, 0xe896898f
	s_mov_b32 s17, 0x40ce7437
	v_add_f64 v[28:29], v[16:17], s[16:17]
	s_mov_b32 s16, 0x9b27acf1
	s_mov_b32 s17, 0x3fd24924
	v_mul_f64 v[30:31], v[20:21], v[22:23]
	v_fma_f64 v[26:27], v[22:23], v[26:27], s[20:21]
	s_mov_b32 s20, 0xf0284cdd
	s_mov_b32 s21, 0x41f43f78
	v_fma_f64 v[28:29], v[8:9], v[28:29], s[18:19]
	s_mov_b32 s18, 0x5164d101
	s_mov_b32 s19, 0x41b00763
	;; [unrolled: 3-line block ×3, first 2 shown]
	v_fma_f64 v[28:29], v[8:9], v[28:29], s[20:21]
	v_fma_f64 v[26:27], v[22:23], v[26:27], s[16:17]
	s_mov_b32 s16, 0x576dfcb6
	s_mov_b32 s17, 0x40904522
	v_add_f64 v[16:17], v[16:17], s[16:17]
	s_mov_b32 s16, 0x998ef7b6
	s_mov_b32 s17, 0x3fd99999
	v_fma_f64 v[26:27], v[22:23], v[26:27], s[16:17]
	s_mov_b32 s16, 0xa907bc0c
	s_mov_b32 s17, 0x41231b76
	v_fma_f64 v[16:17], v[8:9], v[16:17], s[16:17]
	;; [unrolled: 3-line block ×3, first 2 shown]
	v_fma_f64 v[26:27], v[8:9], v[28:29], s[22:23]
	v_ldexp_f64 v[28:29], v[20:21], 1
	v_fma_f64 v[16:17], v[8:9], v[16:17], s[18:19]
	s_mov_b32 s14, 0x2b8664bc
	s_mov_b32 s15, 0x42341ddb
	v_add_f64 v[20:21], v[20:21], -v[24:25]
	s_mov_b32 s18, 0xdfeb596d
	v_mul_f64 v[22:23], v[30:31], v[22:23]
	v_frexp_exp_i32_f64_e32 v30, v[6:7]
	s_mov_b32 s19, 0x43268910
	v_fma_f64 v[6:7], v[8:9], v[16:17], s[14:15]
	v_fma_f64 v[16:17], v[8:9], v[26:27], s[24:25]
	s_mov_b32 s14, 0xfefa39ef
	s_mov_b32 s15, 0x3fe62e42
	v_add_f64 v[18:19], v[18:19], -v[20:21]
	v_add_f64 v[24:25], v[28:29], v[22:23]
	v_subbrev_co_u32_e32 v26, vcc, 0, v30, vcc
	v_cvt_f64_i32_e32 v[26:27], v26
	v_fma_f64 v[6:7], v[8:9], v[6:7], s[16:17]
	v_fma_f64 v[16:17], v[8:9], v[16:17], s[26:27]
	s_mov_b32 s16, 0xbcf9b5d0
	v_mul_f64 v[30:31], v[26:27], s[14:15]
	v_add_f64 v[20:21], v[24:25], -v[28:29]
	v_ldexp_f64 v[18:19], v[18:19], 1
	s_mov_b32 s17, 0x438bd25f
	v_fma_f64 v[6:7], v[8:9], v[6:7], s[18:19]
	v_fma_f64 v[16:17], v[8:9], v[16:17], s[28:29]
	v_fma_f64 v[28:29], v[26:27], s[14:15], -v[30:31]
	v_add_f64 v[20:21], v[22:23], -v[20:21]
	s_mov_b32 s14, 0x5906367b
	s_mov_b32 s15, 0xc3506d4b
	v_fma_f64 v[6:7], v[8:9], v[6:7], s[16:17]
	v_fma_f64 v[8:9], v[8:9], v[16:17], s[14:15]
	s_mov_b32 s14, 0x3b39803f
	s_mov_b32 s15, 0x3c7abc9e
	v_fma_f64 v[16:17], v[26:27], s[14:15], v[28:29]
	v_add_f64 v[18:19], v[18:19], v[20:21]
	v_div_scale_f64 v[20:21], s[14:15], v[6:7], v[6:7], v[8:9]
	s_mov_b32 s14, 0x6dc9c883
	v_add_f64 v[22:23], v[30:31], v[16:17]
	v_add_f64 v[26:27], v[24:25], v[18:19]
	s_mov_b32 s15, 0x3fe45f30
	v_add_f64 v[30:31], v[22:23], -v[30:31]
	v_add_f64 v[28:29], v[22:23], v[26:27]
	v_add_f64 v[24:25], v[26:27], -v[24:25]
	v_rcp_f64_e32 v[34:35], v[20:21]
	v_add_f64 v[16:17], v[16:17], -v[30:31]
	v_add_f64 v[36:37], v[28:29], -v[22:23]
	;; [unrolled: 1-line block ×5, first 2 shown]
	v_add_f64 v[30:31], v[16:17], v[18:19]
	v_fma_f64 v[48:49], -v[20:21], v[34:35], 1.0
	v_add_f64 v[22:23], v[22:23], -v[38:39]
	v_add_f64 v[36:37], v[30:31], -v[16:17]
	v_fma_f64 v[26:27], v[34:35], v[48:49], v[34:35]
	v_div_scale_f64 v[34:35], vcc, v[8:9], v[6:7], v[8:9]
	v_add_f64 v[22:23], v[24:25], v[22:23]
	v_add_f64 v[18:19], v[18:19], -v[36:37]
	v_fma_f64 v[24:25], -v[20:21], v[26:27], 1.0
	v_add_f64 v[22:23], v[30:31], v[22:23]
	v_fma_f64 v[24:25], v[26:27], v[24:25], v[26:27]
	v_add_f64 v[26:27], v[30:31], -v[36:37]
	v_add_f64 v[30:31], v[28:29], v[22:23]
	v_mul_f64 v[38:39], v[34:35], v[24:25]
	v_add_f64 v[16:17], v[16:17], -v[26:27]
	v_add_f64 v[26:27], v[30:31], -v[28:29]
	v_fma_f64 v[20:21], -v[20:21], v[38:39], v[34:35]
	v_add_f64 v[16:17], v[18:19], v[16:17]
	v_add_f64 v[18:19], v[22:23], -v[26:27]
	v_div_fmas_f64 v[20:21], v[20:21], v[24:25], v[38:39]
	v_add_f64 v[16:17], v[16:17], v[18:19]
	v_add_f64 v[16:17], v[30:31], v[16:17]
	v_div_fixup_f64 v[6:7], v[20:21], v[6:7], v[8:9]
	v_mul_f64 v[8:9], v[16:17], s[14:15]
	v_fma_f64 v[10:11], v[8:9], v[10:11], v[6:7]
.LBB0_83:
	s_or_b64 exec, exec, s[12:13]
.LBB0_84:
	s_or_b64 exec, exec, s[10:11]
                                        ; implicit-def: $vgpr6_vgpr7
.LBB0_85:
	s_andn2_saveexec_b64 s[10:11], s[6:7]
	s_cbranch_execz .LBB0_100
; %bb.86:
	s_mov_b32 s15, 0xbfe921fb
	s_mov_b32 s14, 0x54442d18
	v_add_f64 v[8:9], v[6:7], s[14:15]
	s_mov_b32 s6, 0
	s_mov_b32 s7, 0x41d00000
                                        ; implicit-def: $vgpr29
                                        ; implicit-def: $vgpr18_vgpr19
                                        ; implicit-def: $vgpr20_vgpr21
	v_trig_preop_f64 v[26:27], |v[8:9]|, 0
	v_trig_preop_f64 v[24:25], |v[8:9]|, 1
	;; [unrolled: 1-line block ×3, first 2 shown]
	v_cmp_nlt_f64_e64 s[12:13], |v[8:9]|, s[6:7]
	s_and_saveexec_b64 s[6:7], s[12:13]
	s_xor_b64 s[16:17], exec, s[6:7]
	s_cbranch_execz .LBB0_93
; %bb.87:
	s_mov_b32 s6, 0
	s_mov_b32 s7, 0x7b000000
	s_movk_i32 s15, 0xff80
	v_ldexp_f64 v[10:11], |v[8:9]|, s15
	v_cmp_ge_f64_e64 vcc, |v[8:9]|, s[6:7]
	v_and_b32_e32 v16, 0x7fffffff, v9
	s_mov_b32 s6, 0
	s_mov_b32 s7, 0x7ff00000
	v_mov_b32_e32 v51, 0x40100000
	v_mov_b32_e32 v50, 0
	s_mov_b32 s15, 0x3ff921fb
	v_cndmask_b32_e32 v11, v16, v11, vcc
	v_cndmask_b32_e32 v10, v8, v10, vcc
	v_mul_f64 v[16:17], v[26:27], v[10:11]
	v_mul_f64 v[18:19], v[24:25], v[10:11]
	v_mul_f64 v[36:37], v[22:23], v[10:11]
	v_fma_f64 v[20:21], v[26:27], v[10:11], -v[16:17]
	v_fma_f64 v[38:39], v[24:25], v[10:11], -v[18:19]
	;; [unrolled: 1-line block ×3, first 2 shown]
	v_add_f64 v[28:29], v[18:19], v[20:21]
	v_add_f64 v[30:31], v[28:29], -v[18:19]
	v_add_f64 v[48:49], v[16:17], v[28:29]
	v_add_f64 v[34:35], v[28:29], -v[30:31]
	v_add_f64 v[20:21], v[20:21], -v[30:31]
	v_add_f64 v[30:31], v[36:37], v[38:39]
	v_add_f64 v[16:17], v[48:49], -v[16:17]
	v_add_f64 v[18:19], v[18:19], -v[34:35]
	v_ldexp_f64 v[34:35], v[48:49], -2
	v_add_f64 v[52:53], v[30:31], -v[36:37]
	v_add_f64 v[16:17], v[28:29], -v[16:17]
	v_add_f64 v[18:19], v[20:21], v[18:19]
	v_fract_f64_e32 v[20:21], v[34:35]
	v_cmp_neq_f64_e64 vcc, |v[34:35]|, s[6:7]
	v_add_f64 v[38:39], v[38:39], -v[52:53]
	v_add_f64 v[28:29], v[30:31], v[18:19]
	v_ldexp_f64 v[20:21], v[20:21], 2
	v_add_f64 v[34:35], v[16:17], v[28:29]
	v_cndmask_b32_e32 v21, 0, v21, vcc
	v_cndmask_b32_e32 v20, 0, v20, vcc
	v_add_f64 v[54:55], v[28:29], -v[30:31]
	v_add_f64 v[48:49], v[34:35], v[20:21]
	v_add_f64 v[16:17], v[34:35], -v[16:17]
	v_add_f64 v[64:65], v[28:29], -v[54:55]
	;; [unrolled: 1-line block ×3, first 2 shown]
	v_cmp_gt_f64_e32 vcc, 0, v[48:49]
	v_add_f64 v[48:49], v[30:31], -v[52:53]
	v_add_f64 v[16:17], v[28:29], -v[16:17]
	;; [unrolled: 1-line block ×3, first 2 shown]
	v_cndmask_b32_e32 v51, 0, v51, vcc
	v_add_f64 v[20:21], v[20:21], v[50:51]
	v_add_f64 v[48:49], v[36:37], -v[48:49]
	v_add_f64 v[18:19], v[18:19], v[30:31]
	v_add_f64 v[66:67], v[34:35], v[20:21]
	;; [unrolled: 1-line block ×3, first 2 shown]
	v_cvt_i32_f64_e32 v53, v[66:67]
	v_add_f64 v[18:19], v[38:39], v[18:19]
	v_cvt_f64_i32_e32 v[51:52], v53
	v_add_f64 v[20:21], v[20:21], -v[51:52]
	v_add_f64 v[10:11], v[10:11], v[18:19]
	v_add_f64 v[30:31], v[34:35], v[20:21]
	;; [unrolled: 1-line block ×3, first 2 shown]
	v_add_f64 v[18:19], v[30:31], -v[20:21]
	v_cmp_le_f64_e32 vcc, 0.5, v[30:31]
	v_add_f64 v[16:17], v[34:35], -v[18:19]
	v_mov_b32_e32 v18, 0x3ff00000
	v_cndmask_b32_e32 v51, 0, v18, vcc
	v_addc_co_u32_e64 v29, s[6:7], 0, v53, vcc
	s_mov_b32 s6, 0x33145c07
	s_mov_b32 s7, 0x3c91a626
	v_add_f64 v[10:11], v[10:11], v[16:17]
	v_add_f64 v[16:17], v[30:31], -v[50:51]
	v_add_f64 v[18:19], v[16:17], v[10:11]
	v_mul_f64 v[20:21], v[18:19], s[14:15]
	v_add_f64 v[16:17], v[18:19], -v[16:17]
	v_fma_f64 v[30:31], v[18:19], s[14:15], -v[20:21]
	v_add_f64 v[10:11], v[10:11], -v[16:17]
	v_fma_f64 v[16:17], v[18:19], s[6:7], v[30:31]
	v_fma_f64 v[10:11], v[10:11], s[14:15], v[16:17]
	v_add_f64 v[18:19], v[20:21], v[10:11]
	v_add_f64 v[16:17], v[18:19], -v[20:21]
	v_add_f64 v[20:21], v[10:11], -v[16:17]
	s_andn2_saveexec_b64 s[6:7], s[16:17]
	s_cbranch_execz .LBB0_95
	s_branch .LBB0_94
.LBB0_88:
	s_or_b64 exec, exec, s[8:9]
	s_and_saveexec_b64 s[6:7], s[4:5]
	s_xor_b64 s[4:5], exec, s[6:7]
	s_cbranch_execz .LBB0_101
.LBB0_89:
	v_mov_b32_e32 v6, 0
	v_lshlrev_b64 v[5:6], 3, v[5:6]
	v_mov_b32_e32 v32, v33
	v_add_co_u32_e32 v5, vcc, v0, v5
	v_addc_co_u32_e32 v6, vcc, v1, v6, vcc
	flat_store_dwordx2 v[5:6], v[2:3]
	s_or_b64 exec, exec, s[4:5]
	v_cmp_lt_i32_e32 vcc, v32, v4
	s_and_saveexec_b64 s[4:5], vcc
	s_cbranch_execnz .LBB0_102
.LBB0_90:
	s_or_b64 exec, exec, s[4:5]
	v_cmp_lt_i32_e32 vcc, v32, v4
	s_and_saveexec_b64 s[4:5], vcc
	s_cbranch_execz .LBB0_103
.LBB0_91:
	v_add_u32_e32 v2, s42, v32
	v_mov_b32_e32 v3, 0
	v_lshlrev_b64 v[2:3], 3, v[2:3]
	v_add_u32_e32 v32, 0x100, v32
	v_add_co_u32_e32 v2, vcc, v0, v2
	v_addc_co_u32_e32 v3, vcc, v1, v3, vcc
	flat_store_dwordx2 v[2:3], v[12:13]
	s_or_b64 exec, exec, s[4:5]
	v_cmp_lt_i32_e32 vcc, v32, v4
	s_and_saveexec_b64 s[4:5], vcc
	s_cbranch_execnz .LBB0_104
.LBB0_92:
	s_or_b64 exec, exec, s[4:5]
	s_waitcnt vmcnt(0) lgkmcnt(0)
	s_setpc_b64 s[30:31]
.LBB0_93:
	s_andn2_saveexec_b64 s[6:7], s[16:17]
	s_cbranch_execz .LBB0_95
.LBB0_94:
	s_mov_b32 s14, 0x6dc9c883
	s_mov_b32 s15, 0x3fe45f30
	v_mul_f64 v[10:11], |v[8:9]|, s[14:15]
	s_mov_b32 s14, 0x54442d18
	s_mov_b32 s15, 0xbff921fb
	;; [unrolled: 1-line block ×4, first 2 shown]
	v_rndne_f64_e32 v[10:11], v[10:11]
	v_fma_f64 v[16:17], v[10:11], s[14:15], |v[8:9]|
	v_mul_f64 v[18:19], v[10:11], s[16:17]
	s_mov_b32 s14, 0x252049c0
	s_mov_b32 s15, 0xb97b839a
	v_add_f64 v[20:21], v[16:17], v[18:19]
	v_add_f64 v[28:29], v[16:17], -v[20:21]
	v_fma_f64 v[16:17], v[10:11], s[16:17], v[16:17]
	s_mov_b32 s17, 0x3c91a626
	v_add_f64 v[28:29], v[28:29], v[18:19]
	v_add_f64 v[20:21], v[20:21], -v[16:17]
	v_fma_f64 v[18:19], v[10:11], s[16:17], v[18:19]
	v_add_f64 v[20:21], v[20:21], v[28:29]
	v_cvt_i32_f64_e32 v29, v[10:11]
	v_add_f64 v[18:19], v[20:21], -v[18:19]
	v_fma_f64 v[20:21], v[10:11], s[14:15], v[18:19]
	v_add_f64 v[18:19], v[16:17], v[20:21]
	v_add_f64 v[16:17], v[18:19], -v[16:17]
	v_add_f64 v[20:21], v[20:21], -v[16:17]
.LBB0_95:
	s_or_b64 exec, exec, s[6:7]
                                        ; implicit-def: $vgpr28
                                        ; implicit-def: $vgpr10_vgpr11
                                        ; implicit-def: $vgpr16_vgpr17
	s_and_saveexec_b64 s[6:7], s[12:13]
	s_xor_b64 s[12:13], exec, s[6:7]
	s_cbranch_execz .LBB0_97
; %bb.96:
	s_mov_b32 s6, 0
	s_mov_b32 s7, 0x7b000000
	s_movk_i32 s14, 0xff80
	v_ldexp_f64 v[10:11], |v[8:9]|, s14
	v_cmp_ge_f64_e64 vcc, |v[8:9]|, s[6:7]
	v_and_b32_e32 v16, 0x7fffffff, v9
	s_mov_b32 s6, 0
	s_mov_b32 s7, 0x7ff00000
	v_mov_b32_e32 v28, 0x40100000
	v_mov_b32_e32 v52, 0
	s_mov_b32 s14, 0x33145c07
	s_mov_b32 s15, 0x3c91a626
	v_cndmask_b32_e32 v11, v16, v11, vcc
	v_cndmask_b32_e32 v10, v8, v10, vcc
	v_mul_f64 v[16:17], v[26:27], v[10:11]
	v_mul_f64 v[30:31], v[24:25], v[10:11]
	;; [unrolled: 1-line block ×3, first 2 shown]
	v_fma_f64 v[26:27], v[26:27], v[10:11], -v[16:17]
	v_fma_f64 v[24:25], v[24:25], v[10:11], -v[30:31]
	;; [unrolled: 1-line block ×3, first 2 shown]
	v_add_f64 v[34:35], v[30:31], v[26:27]
	v_add_f64 v[36:37], v[34:35], -v[30:31]
	v_add_f64 v[50:51], v[16:17], v[34:35]
	v_add_f64 v[38:39], v[34:35], -v[36:37]
	v_add_f64 v[26:27], v[26:27], -v[36:37]
	v_add_f64 v[36:37], v[48:49], v[24:25]
	v_add_f64 v[16:17], v[50:51], -v[16:17]
	v_add_f64 v[30:31], v[30:31], -v[38:39]
	v_ldexp_f64 v[38:39], v[50:51], -2
	v_add_f64 v[54:55], v[36:37], -v[48:49]
	v_add_f64 v[16:17], v[34:35], -v[16:17]
	v_add_f64 v[26:27], v[26:27], v[30:31]
	v_fract_f64_e32 v[30:31], v[38:39]
	v_cmp_neq_f64_e64 vcc, |v[38:39]|, s[6:7]
	v_add_f64 v[24:25], v[24:25], -v[54:55]
	v_add_f64 v[34:35], v[36:37], v[26:27]
	v_ldexp_f64 v[30:31], v[30:31], 2
	v_add_f64 v[38:39], v[16:17], v[34:35]
	v_cndmask_b32_e32 v31, 0, v31, vcc
	v_cndmask_b32_e32 v30, 0, v30, vcc
	v_add_f64 v[64:65], v[34:35], -v[36:37]
	v_add_f64 v[50:51], v[38:39], v[30:31]
	v_add_f64 v[16:17], v[38:39], -v[16:17]
	v_add_f64 v[66:67], v[34:35], -v[64:65]
	;; [unrolled: 1-line block ×3, first 2 shown]
	v_cmp_gt_f64_e32 vcc, 0, v[50:51]
	v_add_f64 v[50:51], v[36:37], -v[54:55]
	v_add_f64 v[16:17], v[34:35], -v[16:17]
	;; [unrolled: 1-line block ×3, first 2 shown]
	v_cndmask_b32_e32 v53, 0, v28, vcc
	v_add_f64 v[30:31], v[30:31], v[52:53]
	v_add_f64 v[50:51], v[48:49], -v[50:51]
	v_add_f64 v[26:27], v[26:27], v[36:37]
	v_add_f64 v[68:69], v[38:39], v[30:31]
	;; [unrolled: 1-line block ×3, first 2 shown]
	v_cvt_i32_f64_e32 v28, v[68:69]
	v_add_f64 v[22:23], v[24:25], v[26:27]
	v_cvt_f64_i32_e32 v[53:54], v28
	v_add_f64 v[30:31], v[30:31], -v[53:54]
	v_add_f64 v[10:11], v[10:11], v[22:23]
	v_add_f64 v[24:25], v[38:39], v[30:31]
	;; [unrolled: 1-line block ×3, first 2 shown]
	v_add_f64 v[22:23], v[24:25], -v[30:31]
	v_cmp_le_f64_e32 vcc, 0.5, v[24:25]
	v_add_f64 v[16:17], v[38:39], -v[22:23]
	v_mov_b32_e32 v22, 0x3ff00000
	v_cndmask_b32_e32 v53, 0, v22, vcc
	v_addc_co_u32_e64 v28, s[6:7], 0, v28, vcc
	s_mov_b32 s6, 0x54442d18
	s_mov_b32 s7, 0x3ff921fb
	v_add_f64 v[10:11], v[10:11], v[16:17]
	v_add_f64 v[16:17], v[24:25], -v[52:53]
	v_add_f64 v[22:23], v[16:17], v[10:11]
	v_mul_f64 v[24:25], v[22:23], s[6:7]
	v_add_f64 v[16:17], v[22:23], -v[16:17]
	v_fma_f64 v[26:27], v[22:23], s[6:7], -v[24:25]
	v_add_f64 v[10:11], v[10:11], -v[16:17]
	v_fma_f64 v[16:17], v[22:23], s[14:15], v[26:27]
	v_fma_f64 v[16:17], v[10:11], s[6:7], v[16:17]
	v_add_f64 v[10:11], v[24:25], v[16:17]
	v_add_f64 v[22:23], v[10:11], -v[24:25]
	v_add_f64 v[16:17], v[16:17], -v[22:23]
	s_andn2_saveexec_b64 s[6:7], s[12:13]
	s_cbranch_execnz .LBB0_98
	s_branch .LBB0_99
.LBB0_97:
	s_andn2_saveexec_b64 s[6:7], s[12:13]
	s_cbranch_execz .LBB0_99
.LBB0_98:
	s_mov_b32 s12, 0x6dc9c883
	s_mov_b32 s13, 0x3fe45f30
	v_mul_f64 v[10:11], |v[8:9]|, s[12:13]
	s_mov_b32 s12, 0x54442d18
	s_mov_b32 s13, 0xbff921fb
	;; [unrolled: 1-line block ×4, first 2 shown]
	v_rndne_f64_e32 v[22:23], v[10:11]
	v_fma_f64 v[10:11], v[22:23], s[12:13], |v[8:9]|
	v_mul_f64 v[16:17], v[22:23], s[14:15]
	s_mov_b32 s12, 0x252049c0
	s_mov_b32 s13, 0xb97b839a
	v_cvt_i32_f64_e32 v28, v[22:23]
	v_fma_f64 v[30:31], v[22:23], s[14:15], v[10:11]
	v_add_f64 v[24:25], v[10:11], v[16:17]
	s_mov_b32 s15, 0x3c91a626
	v_add_f64 v[26:27], v[10:11], -v[24:25]
	v_add_f64 v[24:25], v[24:25], -v[30:31]
	v_add_f64 v[10:11], v[26:27], v[16:17]
	v_fma_f64 v[16:17], v[22:23], s[14:15], v[16:17]
	v_add_f64 v[10:11], v[24:25], v[10:11]
	v_add_f64 v[10:11], v[10:11], -v[16:17]
	v_fma_f64 v[16:17], v[22:23], s[12:13], v[10:11]
	v_add_f64 v[10:11], v[30:31], v[16:17]
	v_add_f64 v[24:25], v[10:11], -v[30:31]
	v_add_f64 v[16:17], v[16:17], -v[24:25]
.LBB0_99:
	s_or_b64 exec, exec, s[6:7]
	v_mul_f64 v[22:23], v[6:7], v[6:7]
	s_mov_b32 s6, 0
	s_mov_b32 s7, 0x40390000
	;; [unrolled: 1-line block ×7, first 2 shown]
	v_div_scale_f64 v[24:25], s[12:13], v[22:23], v[22:23], s[6:7]
	s_mov_b32 s12, 0x46cc5e42
	s_mov_b32 s13, 0xbda907db
	;; [unrolled: 1-line block ×13, first 2 shown]
	v_mul_f64 v[52:53], v[20:21], 0.5
	v_rcp_f64_e32 v[26:27], v[24:25]
	s_mov_b32 s41, 0xbfc55555
	s_mov_b32 s40, s20
	s_mov_b32 s44, 0
	s_mov_b32 s45, 0x40140000
	v_fma_f64 v[30:31], -v[24:25], v[26:27], 1.0
	v_fma_f64 v[26:27], v[26:27], v[30:31], v[26:27]
	v_fma_f64 v[30:31], -v[24:25], v[26:27], 1.0
	v_fma_f64 v[26:27], v[26:27], v[30:31], v[26:27]
	v_div_scale_f64 v[30:31], vcc, s[6:7], v[22:23], s[6:7]
	v_mul_f64 v[34:35], v[30:31], v[26:27]
	v_fma_f64 v[24:25], -v[24:25], v[34:35], v[30:31]
	s_nop 1
	v_div_fmas_f64 v[24:25], v[24:25], v[26:27], v[34:35]
	v_mov_b32_e32 v34, 0x413c25ac
	v_mov_b32_e32 v35, 0x40501457
	v_div_fixup_f64 v[24:25], v[24:25], v[22:23], s[6:7]
	v_mov_b32_e32 v22, 0x983b6b27
	v_mov_b32_e32 v23, 0x3f4a1d30
	s_mov_b32 s6, 0xb35dd1cf
	s_mov_b32 s7, 0x3fb534b0
	v_fma_f64 v[22:23], v[24:25], 0, v[22:23]
	v_fma_f64 v[34:35], v[24:25], 0, v[34:35]
	;; [unrolled: 1-line block ×3, first 2 shown]
	s_mov_b32 s6, 0x4e680b98
	s_mov_b32 s7, 0x3ff3d521
	v_fma_f64 v[22:23], v[24:25], v[22:23], s[6:7]
	s_mov_b32 s6, 0xe97a0956
	s_mov_b32 s7, 0x4015c9fb
	v_fma_f64 v[22:23], v[24:25], v[22:23], s[6:7]
	;; [unrolled: 3-line block ×4, first 2 shown]
	v_mov_b32_e32 v22, 0xce039737
	v_mov_b32_e32 v23, 0x3f4e4a80
	v_fma_f64 v[22:23], v[24:25], 0, v[22:23]
	s_mov_b32 s6, 0xab5454e3
	s_mov_b32 s7, 0x3fb5ebc5
	v_fma_f64 v[22:23], v[24:25], v[22:23], s[6:7]
	s_mov_b32 s6, 0xc9b3069f
	s_mov_b32 s7, 0x3ff40e72
	;; [unrolled: 3-line block ×6, first 2 shown]
	v_fma_f64 v[30:31], v[24:25], v[22:23], 1.0
	v_mov_b32_e32 v22, 0x38a5384a
	v_mov_b32_e32 v23, 0xbf874742
	v_fma_f64 v[22:23], v[24:25], 0, v[22:23]
	v_fma_f64 v[22:23], v[24:25], v[22:23], s[6:7]
	s_mov_b32 s6, 0xf50e2c0c
	s_mov_b32 s7, 0xc0338dcf
	v_fma_f64 v[22:23], v[24:25], v[22:23], s[6:7]
	s_mov_b32 s6, 0x5a6de8c4
	s_mov_b32 s7, 0xc0574d2f
	;; [unrolled: 3-line block ×12, first 2 shown]
	v_fma_f64 v[34:35], v[24:25], v[34:35], s[6:7]
	v_fma_f64 v[24:25], v[24:25], v[26:27], 1.0
	v_div_scale_f64 v[26:27], s[6:7], v[30:31], v[30:31], v[24:25]
	s_mov_b32 s6, 0x9037ab78
	s_mov_b32 s7, 0x3e21eeb6
	v_rcp_f64_e32 v[36:37], v[26:27]
	v_fma_f64 v[38:39], -v[26:27], v[36:37], 1.0
	v_fma_f64 v[36:37], v[36:37], v[38:39], v[36:37]
	v_fma_f64 v[38:39], -v[26:27], v[36:37], 1.0
	v_fma_f64 v[36:37], v[36:37], v[38:39], v[36:37]
	v_div_scale_f64 v[38:39], vcc, v[24:25], v[30:31], v[24:25]
	v_mul_f64 v[48:49], v[38:39], v[36:37]
	v_fma_f64 v[26:27], -v[26:27], v[48:49], v[38:39]
	s_nop 1
	v_div_fmas_f64 v[26:27], v[26:27], v[36:37], v[48:49]
	v_mov_b32_e32 v49, s7
	v_mov_b32_e32 v48, s6
	s_mov_b32 s6, 0xb42fdfa7
	s_mov_b32 s7, 0xbe5ae600
	v_div_fixup_f64 v[24:25], v[26:27], v[30:31], v[24:25]
	v_mul_f64 v[26:27], v[18:19], v[18:19]
	v_mul_f64 v[30:31], v[26:27], 0.5
	v_fma_f64 v[50:51], v[26:27], s[12:13], v[48:49]
	v_add_f64 v[36:37], -v[30:31], 1.0
	v_fma_f64 v[50:51], v[26:27], v[50:51], s[14:15]
	v_add_f64 v[38:39], -v[36:37], 1.0
	v_fma_f64 v[50:51], v[26:27], v[50:51], s[16:17]
	v_add_f64 v[30:31], v[38:39], -v[30:31]
	v_fma_f64 v[50:51], v[26:27], v[50:51], s[18:19]
	v_mul_f64 v[38:39], v[26:27], v[26:27]
	v_fma_f64 v[30:31], v[18:19], -v[20:21], v[30:31]
	v_fma_f64 v[50:51], v[26:27], v[50:51], s[20:21]
	v_fma_f64 v[30:31], v[38:39], v[50:51], v[30:31]
	v_mul_f64 v[50:51], v[18:19], -v[26:27]
	v_add_f64 v[30:31], v[36:37], v[30:31]
	v_mov_b32_e32 v37, s7
	v_mov_b32_e32 v36, s6
	v_fma_f64 v[38:39], v[26:27], s[22:23], v[36:37]
	s_movk_i32 s6, 0x1f8
	v_cmp_class_f64_e64 s[6:7], v[8:9], s6
	v_fma_f64 v[38:39], v[26:27], v[38:39], s[24:25]
	v_fma_f64 v[38:39], v[26:27], v[38:39], s[26:27]
	;; [unrolled: 1-line block ×4, first 2 shown]
	v_fma_f64 v[20:21], v[26:27], v[38:39], -v[20:21]
	v_fma_f64 v[20:21], v[50:51], s[40:41], v[20:21]
	v_add_f64 v[18:19], v[18:19], -v[20:21]
	v_and_b32_e32 v20, 1, v29
	v_cmp_eq_u32_e32 vcc, 0, v20
	v_lshlrev_b32_e32 v20, 30, v29
	v_xor_b32_e32 v20, v20, v9
	v_and_b32_e32 v20, 0x80000000, v20
	v_cndmask_b32_e32 v19, v31, v19, vcc
	v_cndmask_b32_e32 v18, v30, v18, vcc
	v_xor_b32_e32 v19, v19, v20
	v_mov_b32_e32 v31, 0x7ff80000
	v_cndmask_b32_e64 v8, 0, v18, s[6:7]
	v_cndmask_b32_e64 v9, v31, v19, s[6:7]
	v_div_scale_f64 v[18:19], s[46:47], v[6:7], v[6:7], s[44:45]
	v_rcp_f64_e32 v[20:21], v[18:19]
	v_fma_f64 v[26:27], -v[18:19], v[20:21], 1.0
	v_fma_f64 v[20:21], v[20:21], v[26:27], v[20:21]
	v_fma_f64 v[26:27], -v[18:19], v[20:21], 1.0
	v_fma_f64 v[20:21], v[20:21], v[26:27], v[20:21]
	v_div_scale_f64 v[26:27], vcc, s[44:45], v[6:7], s[44:45]
	v_mul_f64 v[29:30], v[26:27], v[20:21]
	v_fma_f64 v[18:19], -v[18:19], v[29:30], v[26:27]
	s_nop 1
	v_div_fmas_f64 v[18:19], v[18:19], v[20:21], v[29:30]
	v_div_fixup_f64 v[18:19], v[18:19], v[6:7], s[44:45]
	v_div_scale_f64 v[20:21], s[44:45], v[34:35], v[34:35], v[22:23]
	v_rcp_f64_e32 v[26:27], v[20:21]
	v_fma_f64 v[29:30], -v[20:21], v[26:27], 1.0
	v_fma_f64 v[26:27], v[26:27], v[29:30], v[26:27]
	v_fma_f64 v[29:30], -v[20:21], v[26:27], 1.0
	v_fma_f64 v[26:27], v[26:27], v[29:30], v[26:27]
	v_div_scale_f64 v[29:30], vcc, v[22:23], v[34:35], v[22:23]
	v_mul_f64 v[38:39], v[29:30], v[26:27]
	v_fma_f64 v[20:21], -v[20:21], v[38:39], v[29:30]
	s_nop 1
	v_div_fmas_f64 v[20:21], v[20:21], v[26:27], v[38:39]
	v_div_fixup_f64 v[20:21], v[20:21], v[34:35], v[22:23]
	v_mul_f64 v[18:19], v[18:19], v[20:21]
	v_mul_f64 v[20:21], v[10:11], v[10:11]
	v_mul_f64 v[22:23], v[20:21], 0.5
	v_fma_f64 v[34:35], v[20:21], s[12:13], v[48:49]
	v_add_f64 v[26:27], -v[22:23], 1.0
	v_fma_f64 v[34:35], v[20:21], v[34:35], s[14:15]
	v_add_f64 v[29:30], -v[26:27], 1.0
	v_fma_f64 v[34:35], v[20:21], v[34:35], s[16:17]
	v_add_f64 v[22:23], v[29:30], -v[22:23]
	v_fma_f64 v[34:35], v[20:21], v[34:35], s[18:19]
	v_mul_f64 v[29:30], v[20:21], v[20:21]
	v_fma_f64 v[22:23], v[10:11], -v[16:17], v[22:23]
	v_fma_f64 v[34:35], v[20:21], v[34:35], s[20:21]
	v_fma_f64 v[22:23], v[29:30], v[34:35], v[22:23]
	v_mul_f64 v[29:30], v[10:11], -v[20:21]
	v_mul_f64 v[34:35], v[16:17], 0.5
	v_add_f64 v[22:23], v[26:27], v[22:23]
	v_fma_f64 v[26:27], v[20:21], s[22:23], v[36:37]
	v_fma_f64 v[26:27], v[20:21], v[26:27], s[24:25]
	;; [unrolled: 1-line block ×5, first 2 shown]
	v_fma_f64 v[16:17], v[20:21], v[26:27], -v[16:17]
	v_fma_f64 v[16:17], v[29:30], s[40:41], v[16:17]
	v_add_f64 v[10:11], v[10:11], -v[16:17]
	v_and_b32_e32 v16, 1, v28
	v_cmp_eq_u32_e32 vcc, 0, v16
	v_lshlrev_b32_e32 v16, 30, v28
	v_and_b32_e32 v16, 0x80000000, v16
	v_xor_b32_e32 v11, 0x80000000, v11
	v_cndmask_b32_e32 v11, v11, v23, vcc
	v_cndmask_b32_e32 v10, v10, v22, vcc
	v_xor_b32_e32 v11, v11, v16
	v_cndmask_b32_e64 v10, 0, v10, s[6:7]
	v_cndmask_b32_e64 v11, v31, v11, s[6:7]
	v_mul_f64 v[10:11], v[18:19], v[10:11]
	s_mov_b32 s6, 0x33d43651
	s_mov_b32 s7, 0x3fe98845
	v_fma_f64 v[8:9], v[24:25], v[8:9], v[10:11]
	v_mov_b32_e32 v10, 0x100
	v_mul_f64 v[8:9], v[8:9], s[6:7]
	s_mov_b32 s6, 0
	s_brev_b32 s7, 8
	v_cmp_gt_f64_e32 vcc, s[6:7], v[6:7]
	v_cndmask_b32_e32 v10, 0, v10, vcc
	v_ldexp_f64 v[6:7], v[6:7], v10
	v_rsq_f64_e32 v[10:11], v[6:7]
	v_mul_f64 v[16:17], v[6:7], v[10:11]
	v_mul_f64 v[10:11], v[10:11], 0.5
	v_fma_f64 v[18:19], -v[10:11], v[16:17], 0.5
	v_fma_f64 v[16:17], v[16:17], v[18:19], v[16:17]
	v_fma_f64 v[10:11], v[10:11], v[18:19], v[10:11]
	v_fma_f64 v[20:21], -v[16:17], v[16:17], v[6:7]
	v_fma_f64 v[16:17], v[20:21], v[10:11], v[16:17]
	v_fma_f64 v[18:19], -v[16:17], v[16:17], v[6:7]
	v_fma_f64 v[10:11], v[18:19], v[10:11], v[16:17]
	v_mov_b32_e32 v16, 0xffffff80
	v_cndmask_b32_e32 v16, 0, v16, vcc
	v_ldexp_f64 v[10:11], v[10:11], v16
	v_mov_b32_e32 v16, 0x260
	v_cmp_class_f64_e32 vcc, v[6:7], v16
	v_cndmask_b32_e32 v7, v11, v7, vcc
	v_cndmask_b32_e32 v6, v10, v6, vcc
	v_div_scale_f64 v[10:11], s[6:7], v[6:7], v[6:7], v[8:9]
	v_rcp_f64_e32 v[16:17], v[10:11]
	v_fma_f64 v[18:19], -v[10:11], v[16:17], 1.0
	v_fma_f64 v[16:17], v[16:17], v[18:19], v[16:17]
	v_fma_f64 v[18:19], -v[10:11], v[16:17], 1.0
	v_fma_f64 v[16:17], v[16:17], v[18:19], v[16:17]
	v_div_scale_f64 v[18:19], vcc, v[8:9], v[6:7], v[8:9]
	v_mul_f64 v[20:21], v[18:19], v[16:17]
	v_fma_f64 v[10:11], -v[10:11], v[20:21], v[18:19]
	s_nop 1
	v_div_fmas_f64 v[10:11], v[10:11], v[16:17], v[20:21]
	v_div_fixup_f64 v[10:11], v[10:11], v[6:7], v[8:9]
.LBB0_100:
	s_or_b64 exec, exec, s[10:11]
	s_or_b64 exec, exec, s[8:9]
	s_and_saveexec_b64 s[6:7], s[4:5]
	s_xor_b64 s[4:5], exec, s[6:7]
	s_cbranch_execnz .LBB0_89
.LBB0_101:
	s_or_b64 exec, exec, s[4:5]
	v_cmp_lt_i32_e32 vcc, v32, v4
	s_and_saveexec_b64 s[4:5], vcc
	s_cbranch_execz .LBB0_90
.LBB0_102:
	v_add_u32_e32 v2, s42, v32
	v_mov_b32_e32 v3, 0
	v_lshlrev_b64 v[2:3], 3, v[2:3]
	v_add_u32_e32 v32, 0x100, v32
	v_add_co_u32_e32 v2, vcc, v0, v2
	v_addc_co_u32_e32 v3, vcc, v1, v3, vcc
	flat_store_dwordx2 v[2:3], v[14:15]
	s_or_b64 exec, exec, s[4:5]
	v_cmp_lt_i32_e32 vcc, v32, v4
	s_and_saveexec_b64 s[4:5], vcc
	s_cbranch_execnz .LBB0_91
.LBB0_103:
	s_or_b64 exec, exec, s[4:5]
	v_cmp_lt_i32_e32 vcc, v32, v4
	s_and_saveexec_b64 s[4:5], vcc
	s_cbranch_execz .LBB0_92
.LBB0_104:
	v_add_u32_e32 v2, s42, v32
	v_mov_b32_e32 v3, 0
	v_lshlrev_b64 v[2:3], 3, v[2:3]
	v_add_co_u32_e32 v0, vcc, v0, v2
	v_addc_co_u32_e32 v1, vcc, v1, v3, vcc
	flat_store_dwordx2 v[0:1], v[10:11]
	s_or_b64 exec, exec, s[4:5]
	s_waitcnt vmcnt(0) lgkmcnt(0)
	s_setpc_b64 s[30:31]
.Lfunc_end0:
	.size	_ZN2at6native25elementwise_kernel_helperILb0EZZZNS0_12_GLOBAL__N_121bessel_y0_kernel_cudaERNS_18TensorIteratorBaseEENKUlvE_clEvENKUlvE_clEvEUldE_NS0_6memory8policies11unroll_baseILi256ESt5arrayIPcLm2EE23TrivialOffsetCalculatorILi1EjESF_NS8_15LoadWithoutCastENS8_16StoreWithoutCastELi4ELi1EEEEEvT0_T1_, .Lfunc_end0-_ZN2at6native25elementwise_kernel_helperILb0EZZZNS0_12_GLOBAL__N_121bessel_y0_kernel_cudaERNS_18TensorIteratorBaseEENKUlvE_clEvENKUlvE_clEvEUldE_NS0_6memory8policies11unroll_baseILi256ESt5arrayIPcLm2EE23TrivialOffsetCalculatorILi1EjESF_NS8_15LoadWithoutCastENS8_16StoreWithoutCastELi4ELi1EEEEEvT0_T1_
                                        ; -- End function
	.set .L_ZN2at6native25elementwise_kernel_helperILb0EZZZNS0_12_GLOBAL__N_121bessel_y0_kernel_cudaERNS_18TensorIteratorBaseEENKUlvE_clEvENKUlvE_clEvEUldE_NS0_6memory8policies11unroll_baseILi256ESt5arrayIPcLm2EE23TrivialOffsetCalculatorILi1EjESF_NS8_15LoadWithoutCastENS8_16StoreWithoutCastELi4ELi1EEEEEvT0_T1_.num_vgpr, 82
	.set .L_ZN2at6native25elementwise_kernel_helperILb0EZZZNS0_12_GLOBAL__N_121bessel_y0_kernel_cudaERNS_18TensorIteratorBaseEENKUlvE_clEvENKUlvE_clEvEUldE_NS0_6memory8policies11unroll_baseILi256ESt5arrayIPcLm2EE23TrivialOffsetCalculatorILi1EjESF_NS8_15LoadWithoutCastENS8_16StoreWithoutCastELi4ELi1EEEEEvT0_T1_.num_agpr, 0
	.set .L_ZN2at6native25elementwise_kernel_helperILb0EZZZNS0_12_GLOBAL__N_121bessel_y0_kernel_cudaERNS_18TensorIteratorBaseEENKUlvE_clEvENKUlvE_clEvEUldE_NS0_6memory8policies11unroll_baseILi256ESt5arrayIPcLm2EE23TrivialOffsetCalculatorILi1EjESF_NS8_15LoadWithoutCastENS8_16StoreWithoutCastELi4ELi1EEEEEvT0_T1_.numbered_sgpr, 48
	.set .L_ZN2at6native25elementwise_kernel_helperILb0EZZZNS0_12_GLOBAL__N_121bessel_y0_kernel_cudaERNS_18TensorIteratorBaseEENKUlvE_clEvENKUlvE_clEvEUldE_NS0_6memory8policies11unroll_baseILi256ESt5arrayIPcLm2EE23TrivialOffsetCalculatorILi1EjESF_NS8_15LoadWithoutCastENS8_16StoreWithoutCastELi4ELi1EEEEEvT0_T1_.num_named_barrier, 0
	.set .L_ZN2at6native25elementwise_kernel_helperILb0EZZZNS0_12_GLOBAL__N_121bessel_y0_kernel_cudaERNS_18TensorIteratorBaseEENKUlvE_clEvENKUlvE_clEvEUldE_NS0_6memory8policies11unroll_baseILi256ESt5arrayIPcLm2EE23TrivialOffsetCalculatorILi1EjESF_NS8_15LoadWithoutCastENS8_16StoreWithoutCastELi4ELi1EEEEEvT0_T1_.private_seg_size, 0
	.set .L_ZN2at6native25elementwise_kernel_helperILb0EZZZNS0_12_GLOBAL__N_121bessel_y0_kernel_cudaERNS_18TensorIteratorBaseEENKUlvE_clEvENKUlvE_clEvEUldE_NS0_6memory8policies11unroll_baseILi256ESt5arrayIPcLm2EE23TrivialOffsetCalculatorILi1EjESF_NS8_15LoadWithoutCastENS8_16StoreWithoutCastELi4ELi1EEEEEvT0_T1_.uses_vcc, 1
	.set .L_ZN2at6native25elementwise_kernel_helperILb0EZZZNS0_12_GLOBAL__N_121bessel_y0_kernel_cudaERNS_18TensorIteratorBaseEENKUlvE_clEvENKUlvE_clEvEUldE_NS0_6memory8policies11unroll_baseILi256ESt5arrayIPcLm2EE23TrivialOffsetCalculatorILi1EjESF_NS8_15LoadWithoutCastENS8_16StoreWithoutCastELi4ELi1EEEEEvT0_T1_.uses_flat_scratch, 0
	.set .L_ZN2at6native25elementwise_kernel_helperILb0EZZZNS0_12_GLOBAL__N_121bessel_y0_kernel_cudaERNS_18TensorIteratorBaseEENKUlvE_clEvENKUlvE_clEvEUldE_NS0_6memory8policies11unroll_baseILi256ESt5arrayIPcLm2EE23TrivialOffsetCalculatorILi1EjESF_NS8_15LoadWithoutCastENS8_16StoreWithoutCastELi4ELi1EEEEEvT0_T1_.has_dyn_sized_stack, 0
	.set .L_ZN2at6native25elementwise_kernel_helperILb0EZZZNS0_12_GLOBAL__N_121bessel_y0_kernel_cudaERNS_18TensorIteratorBaseEENKUlvE_clEvENKUlvE_clEvEUldE_NS0_6memory8policies11unroll_baseILi256ESt5arrayIPcLm2EE23TrivialOffsetCalculatorILi1EjESF_NS8_15LoadWithoutCastENS8_16StoreWithoutCastELi4ELi1EEEEEvT0_T1_.has_recursion, 0
	.set .L_ZN2at6native25elementwise_kernel_helperILb0EZZZNS0_12_GLOBAL__N_121bessel_y0_kernel_cudaERNS_18TensorIteratorBaseEENKUlvE_clEvENKUlvE_clEvEUldE_NS0_6memory8policies11unroll_baseILi256ESt5arrayIPcLm2EE23TrivialOffsetCalculatorILi1EjESF_NS8_15LoadWithoutCastENS8_16StoreWithoutCastELi4ELi1EEEEEvT0_T1_.has_indirect_call, 0
	.section	.AMDGPU.csdata,"",@progbits
; Function info:
; codeLenInByte = 23028
; TotalNumSgprs: 52
; NumVgprs: 82
; ScratchSize: 0
; MemoryBound: 0
	.text
	.p2align	2                               ; -- Begin function _ZN2at6native25elementwise_kernel_helperILb0EZZZNS0_12_GLOBAL__N_121bessel_y0_kernel_cudaERNS_18TensorIteratorBaseEENKUlvE_clEvENKUlvE_clEvEUldE_NS0_6memory8policies10vectorizedILi4ESt5arrayIPcLm2EELi4EEEEEvT0_T1_
	.type	_ZN2at6native25elementwise_kernel_helperILb0EZZZNS0_12_GLOBAL__N_121bessel_y0_kernel_cudaERNS_18TensorIteratorBaseEENKUlvE_clEvENKUlvE_clEvEUldE_NS0_6memory8policies10vectorizedILi4ESt5arrayIPcLm2EELi4EEEEEvT0_T1_,@function
_ZN2at6native25elementwise_kernel_helperILb0EZZZNS0_12_GLOBAL__N_121bessel_y0_kernel_cudaERNS_18TensorIteratorBaseEENKUlvE_clEvENKUlvE_clEvEUldE_NS0_6memory8policies10vectorizedILi4ESt5arrayIPcLm2EELi4EEEEEvT0_T1_: ; @_ZN2at6native25elementwise_kernel_helperILb0EZZZNS0_12_GLOBAL__N_121bessel_y0_kernel_cudaERNS_18TensorIteratorBaseEENKUlvE_clEvENKUlvE_clEvEUldE_NS0_6memory8policies10vectorizedILi4ESt5arrayIPcLm2EELi4EEEEEvT0_T1_
; %bb.0:
	s_waitcnt vmcnt(0) expcnt(0) lgkmcnt(0)
	s_lshl_b32 s4, s12, 10
	s_ashr_i32 s5, s4, 31
	s_lshl_b64 s[6:7], s[4:5], 3
	v_mov_b32_e32 v4, s7
	v_add_co_u32_e32 v2, vcc, s6, v2
	v_addc_co_u32_e32 v3, vcc, v3, v4, vcc
	v_and_b32_e32 v4, 0x3ff, v31
	v_lshlrev_b32_e32 v26, 5, v4
	v_add_co_u32_e32 v6, vcc, v2, v26
	v_addc_co_u32_e32 v7, vcc, 0, v3, vcc
	flat_load_dwordx4 v[8:11], v[6:7]
	flat_load_dwordx4 v[2:5], v[6:7] offset:16
	s_mov_b32 s4, 0
	s_mov_b32 s5, 0x40140000
                                        ; implicit-def: $vgpr6_vgpr7
	s_waitcnt vmcnt(0) lgkmcnt(0)
	v_cmp_ge_f64_e32 vcc, s[4:5], v[8:9]
	s_and_saveexec_b64 s[4:5], vcc
	s_xor_b64 s[4:5], exec, s[4:5]
	s_cbranch_execz .LBB1_10
; %bb.1:
	v_cmp_neq_f64_e32 vcc, 0, v[8:9]
	v_mov_b32_e32 v6, 0
	v_mov_b32_e32 v7, 0xfff00000
	s_and_saveexec_b64 s[8:9], vcc
	s_cbranch_execz .LBB1_9
; %bb.2:
	v_cmp_ngt_f64_e32 vcc, 0, v[8:9]
	v_mov_b32_e32 v6, 0
	v_mov_b32_e32 v7, 0x7ff80000
	s_and_saveexec_b64 s[10:11], vcc
	s_cbranch_execz .LBB1_8
; %bb.3:
	v_mul_f64 v[6:7], v[8:9], v[8:9]
	s_mov_b32 s12, 0x88e368f1
	s_mov_b32 s13, 0x3ee4f8b5
	v_cmp_ngt_f64_e32 vcc, s[12:13], v[8:9]
                                        ; implicit-def: $vgpr12_vgpr13
	v_mul_f64 v[14:15], v[6:7], 0
	s_and_saveexec_b64 s[12:13], vcc
	s_xor_b64 s[12:13], exec, s[12:13]
	s_cbranch_execz .LBB1_5
; %bb.4:
	s_mov_b32 s14, 0xa696b78c
	s_mov_b32 s15, 0x407f3902
	v_add_f64 v[12:13], v[14:15], s[14:15]
	s_mov_b32 s14, 0x36a21a67
	s_mov_b32 s15, 0x410536cb
	;; [unrolled: 1-line block ×7, first 2 shown]
	v_fma_f64 v[12:13], v[6:7], v[12:13], s[14:15]
	s_mov_b32 s14, 0x2eac0634
	s_mov_b32 s15, 0x41871934
	;; [unrolled: 1-line block ×3, first 2 shown]
	v_fma_f64 v[12:13], v[6:7], v[12:13], s[14:15]
	s_mov_b32 s14, 0xad1c8325
	s_mov_b32 s15, 0xc1f1dc53
	v_add_f64 v[16:17], v[14:15], s[14:15]
	s_mov_b32 s14, 0xe0d900f7
	s_mov_b32 s15, 0xc2ec5614
	v_fma_f64 v[12:13], v[6:7], v[12:13], s[18:19]
	s_mov_b32 s18, 0x72182e46
	s_mov_b32 s19, 0x427ebeb3
	v_fma_f64 v[16:17], v[6:7], v[16:17], s[16:17]
	s_mov_b32 s16, 0x80462bbb
	s_mov_b32 s17, 0xc01721fb
	v_add_f64 v[18:19], v[6:7], s[16:17]
	s_mov_b32 s16, 0x69ff5fb4
	v_fma_f64 v[12:13], v[6:7], v[12:13], s[18:19]
	s_mov_b32 s18, 0xa621dd6f
	s_mov_b32 s19, 0xc03e78a4
	v_add_f64 v[20:21], v[6:7], s[18:19]
	v_fma_f64 v[16:17], v[6:7], v[16:17], s[14:15]
	s_mov_b32 s14, 0x7e7b2e9c
	s_mov_b32 s15, 0x435c4141
	;; [unrolled: 1-line block ×3, first 2 shown]
	v_fma_f64 v[12:13], v[6:7], v[12:13], s[20:21]
	v_mul_f64 v[18:19], v[18:19], v[20:21]
	v_fma_f64 v[16:17], v[6:7], v[16:17], s[16:17]
	v_fma_f64 v[12:13], v[6:7], v[12:13], s[14:15]
	s_mov_b32 s14, 0xc7b662cc
	s_mov_b32 s15, 0x43b7be34
	v_mul_f64 v[16:17], v[18:19], v[16:17]
	v_fma_f64 v[12:13], v[6:7], v[12:13], s[14:15]
	v_div_scale_f64 v[18:19], s[14:15], v[12:13], v[12:13], v[16:17]
	v_div_scale_f64 v[24:25], vcc, v[16:17], v[12:13], v[16:17]
	v_rcp_f64_e32 v[20:21], v[18:19]
	v_fma_f64 v[22:23], -v[18:19], v[20:21], 1.0
	v_fma_f64 v[20:21], v[20:21], v[22:23], v[20:21]
	v_fma_f64 v[22:23], -v[18:19], v[20:21], 1.0
	v_fma_f64 v[20:21], v[20:21], v[22:23], v[20:21]
	v_mul_f64 v[22:23], v[24:25], v[20:21]
	v_fma_f64 v[18:19], -v[18:19], v[22:23], v[24:25]
	v_div_fmas_f64 v[18:19], v[18:19], v[20:21], v[22:23]
	v_div_fixup_f64 v[12:13], v[18:19], v[12:13], v[16:17]
.LBB1_5:
	s_andn2_saveexec_b64 s[12:13], s[12:13]
	s_cbranch_execz .LBB1_7
; %bb.6:
	s_mov_b32 s14, 0
	s_mov_b32 s15, 0xbfd00000
	v_fma_f64 v[12:13], v[6:7], s[14:15], 1.0
.LBB1_7:
	s_or_b64 exec, exec, s[12:13]
	v_frexp_mant_f64_e32 v[16:17], v[8:9]
	s_mov_b32 s13, 0x3fe55555
	s_mov_b32 s12, 0x55555555
	;; [unrolled: 1-line block ×7, first 2 shown]
	v_cmp_gt_f64_e32 vcc, s[12:13], v[16:17]
	s_mov_b32 s21, 0xc16bf81f
	s_mov_b32 s22, 0xf0284cdd
	;; [unrolled: 1-line block ×7, first 2 shown]
	v_cndmask_b32_e64 v18, 0, 1, vcc
	v_ldexp_f64 v[16:17], v[16:17], v18
	s_mov_b32 s27, 0x42d3ea72
	s_mov_b32 s16, 0xd1d8cc02
	;; [unrolled: 1-line block ×3, first 2 shown]
	v_add_f64 v[18:19], v[16:17], 1.0
	v_add_f64 v[24:25], v[16:17], -1.0
	v_rcp_f64_e32 v[20:21], v[18:19]
	v_add_f64 v[27:28], v[18:19], -1.0
	v_add_f64 v[16:17], v[16:17], -v[27:28]
	v_fma_f64 v[22:23], -v[18:19], v[20:21], 1.0
	v_fma_f64 v[20:21], v[22:23], v[20:21], v[20:21]
	v_fma_f64 v[22:23], -v[18:19], v[20:21], 1.0
	v_fma_f64 v[20:21], v[22:23], v[20:21], v[20:21]
	v_mul_f64 v[22:23], v[24:25], v[20:21]
	v_mul_f64 v[29:30], v[18:19], v[22:23]
	v_fma_f64 v[18:19], v[22:23], v[18:19], -v[29:30]
	v_fma_f64 v[16:17], v[22:23], v[16:17], v[18:19]
	v_add_f64 v[18:19], v[29:30], v[16:17]
	v_add_f64 v[27:28], v[24:25], -v[18:19]
	v_add_f64 v[29:30], v[18:19], -v[29:30]
	;; [unrolled: 1-line block ×5, first 2 shown]
	v_mov_b32_e32 v24, 0x6b47b09a
	v_mov_b32_e32 v25, 0x3fc38538
	v_add_f64 v[16:17], v[16:17], v[18:19]
	v_add_f64 v[16:17], v[27:28], v[16:17]
	;; [unrolled: 1-line block ×3, first 2 shown]
	s_mov_b32 s18, 0x9b27acf1
	s_mov_b32 s19, 0x3fd24924
	v_mul_f64 v[16:17], v[20:21], v[16:17]
	v_fma_f64 v[27:28], v[6:7], v[27:28], s[20:21]
	s_mov_b32 s20, 0x5164d101
	s_mov_b32 s21, 0x41b00763
	v_add_f64 v[18:19], v[22:23], v[16:17]
	v_fma_f64 v[27:28], v[6:7], v[27:28], s[22:23]
	v_mul_f64 v[20:21], v[18:19], v[18:19]
	v_fma_f64 v[24:25], v[20:21], s[14:15], v[24:25]
	s_mov_b32 s14, 0xd7f4df2e
	s_mov_b32 s15, 0x3fc7474d
	v_mul_f64 v[29:30], v[18:19], v[20:21]
	v_fma_f64 v[24:25], v[20:21], v[24:25], s[14:15]
	s_mov_b32 s14, 0x16291751
	s_mov_b32 s15, 0x3fcc71c0
	v_fma_f64 v[24:25], v[20:21], v[24:25], s[14:15]
	s_mov_b32 s14, 0x660b4003
	s_mov_b32 s15, 0x4363a94b
	;; [unrolled: 3-line block ×3, first 2 shown]
	v_add_f64 v[14:15], v[14:15], s[18:19]
	s_mov_b32 s18, 0x998ef7b6
	s_mov_b32 s19, 0x3fd99999
	v_fma_f64 v[24:25], v[20:21], v[24:25], s[18:19]
	s_mov_b32 s18, 0xa907bc0c
	s_mov_b32 s19, 0x41231b76
	v_fma_f64 v[14:15], v[6:7], v[14:15], s[18:19]
	;; [unrolled: 3-line block ×3, first 2 shown]
	v_fma_f64 v[24:25], v[6:7], v[27:28], s[24:25]
	v_ldexp_f64 v[27:28], v[18:19], 1
	v_fma_f64 v[14:15], v[6:7], v[14:15], s[20:21]
	s_mov_b32 s12, 0x2b8664bc
	s_mov_b32 s13, 0x42341ddb
	v_add_f64 v[18:19], v[18:19], -v[22:23]
	s_mov_b32 s20, 0xdfeb596d
	v_mul_f64 v[20:21], v[29:30], v[20:21]
	v_frexp_exp_i32_f64_e32 v29, v[8:9]
	v_fma_f64 v[24:25], v[6:7], v[24:25], s[26:27]
	v_fma_f64 v[14:15], v[6:7], v[14:15], s[12:13]
	s_mov_b32 s12, 0xfefa39ef
	s_mov_b32 s13, 0x3fe62e42
	v_add_f64 v[16:17], v[16:17], -v[18:19]
	s_mov_b32 s21, 0x43268910
	v_add_f64 v[22:23], v[27:28], v[20:21]
	v_subbrev_co_u32_e32 v29, vcc, 0, v29, vcc
	v_cvt_f64_i32_e32 v[29:30], v29
	v_fma_f64 v[14:15], v[6:7], v[14:15], s[18:19]
	v_fma_f64 v[24:25], v[6:7], v[24:25], s[16:17]
	v_ldexp_f64 v[16:17], v[16:17], 1
	v_mul_f64 v[31:32], v[29:30], s[12:13]
	v_add_f64 v[18:19], v[22:23], -v[27:28]
	s_mov_b32 s16, 0xbcf9b5d0
	s_mov_b32 s17, 0x438bd25f
	v_fma_f64 v[14:15], v[6:7], v[14:15], s[20:21]
	v_fma_f64 v[24:25], v[6:7], v[24:25], s[14:15]
	v_fma_f64 v[27:28], v[29:30], s[12:13], -v[31:32]
	v_add_f64 v[18:19], v[20:21], -v[18:19]
	s_mov_b32 s12, 0x5906367b
	s_mov_b32 s13, 0xc3506d4b
	v_fma_f64 v[14:15], v[6:7], v[14:15], s[16:17]
	v_fma_f64 v[6:7], v[6:7], v[24:25], s[12:13]
	s_mov_b32 s12, 0x3b39803f
	s_mov_b32 s13, 0x3c7abc9e
	v_fma_f64 v[20:21], v[29:30], s[12:13], v[27:28]
	v_add_f64 v[16:17], v[16:17], v[18:19]
	v_div_scale_f64 v[18:19], s[12:13], v[14:15], v[14:15], v[6:7]
	s_mov_b32 s12, 0x6dc9c883
	v_add_f64 v[24:25], v[31:32], v[20:21]
	v_add_f64 v[27:28], v[22:23], v[16:17]
	s_mov_b32 s13, 0x3fe45f30
	v_add_f64 v[31:32], v[24:25], -v[31:32]
	v_add_f64 v[29:30], v[24:25], v[27:28]
	v_add_f64 v[22:23], v[27:28], -v[22:23]
	v_rcp_f64_e32 v[33:34], v[18:19]
	v_add_f64 v[20:21], v[20:21], -v[31:32]
	v_add_f64 v[35:36], v[29:30], -v[24:25]
	;; [unrolled: 1-line block ×4, first 2 shown]
	v_add_f64 v[31:32], v[20:21], v[16:17]
	v_fma_f64 v[48:49], -v[18:19], v[33:34], 1.0
	v_add_f64 v[22:23], v[24:25], -v[37:38]
	v_add_f64 v[24:25], v[27:28], -v[35:36]
	;; [unrolled: 1-line block ×3, first 2 shown]
	v_fma_f64 v[27:28], v[33:34], v[48:49], v[33:34]
	v_div_scale_f64 v[33:34], vcc, v[6:7], v[14:15], v[6:7]
	v_add_f64 v[22:23], v[24:25], v[22:23]
	v_add_f64 v[16:17], v[16:17], -v[35:36]
	v_fma_f64 v[24:25], -v[18:19], v[27:28], 1.0
	v_add_f64 v[22:23], v[31:32], v[22:23]
	v_fma_f64 v[24:25], v[27:28], v[24:25], v[27:28]
	v_add_f64 v[27:28], v[31:32], -v[35:36]
	v_add_f64 v[31:32], v[29:30], v[22:23]
	v_mul_f64 v[37:38], v[33:34], v[24:25]
	v_add_f64 v[20:21], v[20:21], -v[27:28]
	v_add_f64 v[27:28], v[31:32], -v[29:30]
	v_fma_f64 v[18:19], -v[18:19], v[37:38], v[33:34]
	v_add_f64 v[16:17], v[16:17], v[20:21]
	v_add_f64 v[20:21], v[22:23], -v[27:28]
	v_div_fmas_f64 v[18:19], v[18:19], v[24:25], v[37:38]
	v_add_f64 v[16:17], v[16:17], v[20:21]
	v_add_f64 v[16:17], v[31:32], v[16:17]
	v_div_fixup_f64 v[6:7], v[18:19], v[14:15], v[6:7]
	v_mul_f64 v[14:15], v[16:17], s[12:13]
	v_fma_f64 v[6:7], v[14:15], v[12:13], v[6:7]
.LBB1_8:
	s_or_b64 exec, exec, s[10:11]
.LBB1_9:
	s_or_b64 exec, exec, s[8:9]
.LBB1_10:
	s_andn2_saveexec_b64 s[8:9], s[4:5]
	s_cbranch_execz .LBB1_20
; %bb.11:
	s_mov_b32 s11, 0xbfe921fb
	s_mov_b32 s10, 0x54442d18
	v_add_f64 v[6:7], v[8:9], s[10:11]
	s_mov_b32 s4, 0
	s_mov_b32 s5, 0x41d00000
                                        ; implicit-def: $vgpr28
                                        ; implicit-def: $vgpr16_vgpr17
                                        ; implicit-def: $vgpr18_vgpr19
	v_trig_preop_f64 v[24:25], |v[6:7]|, 0
	v_trig_preop_f64 v[22:23], |v[6:7]|, 1
	;; [unrolled: 1-line block ×3, first 2 shown]
	v_cmp_nlt_f64_e64 s[4:5], |v[6:7]|, s[4:5]
	s_and_saveexec_b64 s[12:13], s[4:5]
	s_xor_b64 s[12:13], exec, s[12:13]
	s_cbranch_execz .LBB1_13
; %bb.12:
	s_mov_b32 s14, 0
	s_mov_b32 s15, 0x7b000000
	s_movk_i32 s11, 0xff80
	v_ldexp_f64 v[12:13], |v[6:7]|, s11
	v_cmp_ge_f64_e64 vcc, |v[6:7]|, s[14:15]
	v_and_b32_e32 v14, 0x7fffffff, v7
	s_mov_b32 s14, 0
	s_mov_b32 s15, 0x7ff00000
	v_mov_b32_e32 v39, 0x40100000
	s_mov_b32 s11, 0x3ff921fb
	v_cndmask_b32_e32 v13, v14, v13, vcc
	v_cndmask_b32_e32 v12, v6, v12, vcc
	v_mul_f64 v[14:15], v[24:25], v[12:13]
	v_mul_f64 v[16:17], v[22:23], v[12:13]
	v_mul_f64 v[31:32], v[20:21], v[12:13]
	v_fma_f64 v[18:19], v[24:25], v[12:13], -v[14:15]
	v_fma_f64 v[33:34], v[22:23], v[12:13], -v[16:17]
	;; [unrolled: 1-line block ×3, first 2 shown]
	v_add_f64 v[27:28], v[16:17], v[18:19]
	v_add_f64 v[37:38], v[31:32], v[33:34]
	v_add_f64 v[29:30], v[27:28], -v[16:17]
	v_add_f64 v[35:36], v[27:28], -v[29:30]
	;; [unrolled: 1-line block ×3, first 2 shown]
	v_add_f64 v[29:30], v[14:15], v[27:28]
	v_add_f64 v[16:17], v[16:17], -v[35:36]
	v_add_f64 v[35:36], v[37:38], -v[31:32]
	;; [unrolled: 1-line block ×3, first 2 shown]
	v_ldexp_f64 v[29:30], v[29:30], -2
	v_add_f64 v[16:17], v[18:19], v[16:17]
	v_add_f64 v[18:19], v[37:38], -v[35:36]
	v_add_f64 v[33:34], v[33:34], -v[35:36]
	v_fract_f64_e32 v[35:36], v[29:30]
	v_add_f64 v[14:15], v[27:28], -v[14:15]
	v_cmp_neq_f64_e64 vcc, |v[29:30]|, s[14:15]
	s_mov_b32 s14, 0x33145c07
	s_mov_b32 s15, 0x3c91a626
	v_add_f64 v[27:28], v[37:38], v[16:17]
	v_add_f64 v[18:19], v[31:32], -v[18:19]
	v_ldexp_f64 v[29:30], v[35:36], 2
	v_add_f64 v[35:36], v[14:15], v[27:28]
	v_add_f64 v[18:19], v[33:34], v[18:19]
	v_cndmask_b32_e32 v30, 0, v30, vcc
	v_cndmask_b32_e32 v29, 0, v29, vcc
	v_add_f64 v[33:34], v[35:36], v[29:30]
	v_add_f64 v[14:15], v[35:36], -v[14:15]
	v_cmp_gt_f64_e32 vcc, 0, v[33:34]
	v_add_f64 v[33:34], v[27:28], -v[37:38]
	v_add_f64 v[14:15], v[27:28], -v[14:15]
	;; [unrolled: 1-line block ×5, first 2 shown]
	v_mov_b32_e32 v37, 0
	v_cndmask_b32_e32 v38, 0, v39, vcc
	v_add_f64 v[29:30], v[29:30], v[37:38]
	v_add_f64 v[16:17], v[16:17], v[33:34]
	;; [unrolled: 1-line block ×4, first 2 shown]
	v_cvt_i32_f64_e32 v39, v[38:39]
	v_cvt_f64_i32_e32 v[33:34], v39
	v_add_f64 v[12:13], v[12:13], v[16:17]
	v_add_f64 v[29:30], v[29:30], -v[33:34]
	v_add_f64 v[12:13], v[14:15], v[12:13]
	v_add_f64 v[18:19], v[35:36], v[29:30]
	v_add_f64 v[16:17], v[18:19], -v[29:30]
	v_cmp_le_f64_e32 vcc, 0.5, v[18:19]
	v_add_f64 v[14:15], v[35:36], -v[16:17]
	v_mov_b32_e32 v16, 0x3ff00000
	v_cndmask_b32_e32 v38, 0, v16, vcc
	v_add_f64 v[12:13], v[12:13], v[14:15]
	v_add_f64 v[14:15], v[18:19], -v[37:38]
	v_add_f64 v[16:17], v[14:15], v[12:13]
	v_mul_f64 v[18:19], v[16:17], s[10:11]
	v_add_f64 v[14:15], v[16:17], -v[14:15]
	v_fma_f64 v[27:28], v[16:17], s[10:11], -v[18:19]
	v_add_f64 v[12:13], v[12:13], -v[14:15]
	v_fma_f64 v[14:15], v[16:17], s[14:15], v[27:28]
	v_addc_co_u32_e32 v28, vcc, 0, v39, vcc
	v_fma_f64 v[12:13], v[12:13], s[10:11], v[14:15]
	v_add_f64 v[16:17], v[18:19], v[12:13]
	v_add_f64 v[14:15], v[16:17], -v[18:19]
	v_add_f64 v[18:19], v[12:13], -v[14:15]
	s_andn2_saveexec_b64 s[10:11], s[12:13]
	s_cbranch_execz .LBB1_15
	s_branch .LBB1_14
.LBB1_13:
	s_andn2_saveexec_b64 s[10:11], s[12:13]
	s_cbranch_execz .LBB1_15
.LBB1_14:
	s_mov_b32 s12, 0x6dc9c883
	s_mov_b32 s13, 0x3fe45f30
	v_mul_f64 v[12:13], |v[6:7]|, s[12:13]
	s_mov_b32 s12, 0x54442d18
	s_mov_b32 s13, 0xbff921fb
	;; [unrolled: 1-line block ×4, first 2 shown]
	v_rndne_f64_e32 v[12:13], v[12:13]
	v_fma_f64 v[14:15], v[12:13], s[12:13], |v[6:7]|
	v_mul_f64 v[16:17], v[12:13], s[14:15]
	s_mov_b32 s12, 0x252049c0
	s_mov_b32 s13, 0xb97b839a
	v_add_f64 v[18:19], v[14:15], v[16:17]
	v_add_f64 v[27:28], v[14:15], -v[18:19]
	v_fma_f64 v[14:15], v[12:13], s[14:15], v[14:15]
	s_mov_b32 s15, 0x3c91a626
	v_add_f64 v[27:28], v[27:28], v[16:17]
	v_add_f64 v[18:19], v[18:19], -v[14:15]
	v_fma_f64 v[16:17], v[12:13], s[14:15], v[16:17]
	v_add_f64 v[18:19], v[18:19], v[27:28]
	v_cvt_i32_f64_e32 v28, v[12:13]
	v_add_f64 v[16:17], v[18:19], -v[16:17]
	v_fma_f64 v[18:19], v[12:13], s[12:13], v[16:17]
	v_add_f64 v[16:17], v[14:15], v[18:19]
	v_add_f64 v[14:15], v[16:17], -v[14:15]
	v_add_f64 v[18:19], v[18:19], -v[14:15]
.LBB1_15:
	s_or_b64 exec, exec, s[10:11]
                                        ; implicit-def: $vgpr27
                                        ; implicit-def: $vgpr12_vgpr13
                                        ; implicit-def: $vgpr14_vgpr15
	s_and_saveexec_b64 s[10:11], s[4:5]
	s_xor_b64 s[10:11], exec, s[10:11]
	s_cbranch_execz .LBB1_17
; %bb.16:
	s_mov_b32 s4, 0
	s_mov_b32 s5, 0x7b000000
	v_cmp_ge_f64_e64 vcc, |v[6:7]|, s[4:5]
	s_movk_i32 s4, 0xff80
	v_ldexp_f64 v[12:13], |v[6:7]|, s4
	v_and_b32_e32 v14, 0x7fffffff, v7
	s_mov_b32 s4, 0
	s_mov_b32 s5, 0x7ff00000
	;; [unrolled: 1-line block ×4, first 2 shown]
	v_cndmask_b32_e32 v13, v14, v13, vcc
	v_cndmask_b32_e32 v12, v6, v12, vcc
	v_mul_f64 v[29:30], v[24:25], v[12:13]
	v_mul_f64 v[14:15], v[22:23], v[12:13]
	v_fma_f64 v[24:25], v[24:25], v[12:13], -v[29:30]
	v_add_f64 v[31:32], v[14:15], v[24:25]
	v_add_f64 v[48:49], v[31:32], -v[14:15]
	v_add_f64 v[33:34], v[29:30], v[31:32]
	v_add_f64 v[24:25], v[24:25], -v[48:49]
	v_add_f64 v[48:49], v[31:32], -v[48:49]
	v_ldexp_f64 v[35:36], v[33:34], -2
	v_add_f64 v[29:30], v[33:34], -v[29:30]
	v_add_f64 v[48:49], v[14:15], -v[48:49]
	v_fma_f64 v[14:15], v[22:23], v[12:13], -v[14:15]
	v_mul_f64 v[22:23], v[20:21], v[12:13]
	v_fract_f64_e32 v[37:38], v[35:36]
	v_add_f64 v[29:30], v[31:32], -v[29:30]
	v_cmp_neq_f64_e64 vcc, |v[35:36]|, s[4:5]
	v_add_f64 v[24:25], v[24:25], v[48:49]
	v_add_f64 v[48:49], v[22:23], v[14:15]
	v_fma_f64 v[12:13], v[20:21], v[12:13], -v[22:23]
	v_add_f64 v[50:51], v[48:49], v[24:25]
	v_add_f64 v[33:34], v[50:51], -v[48:49]
	v_add_f64 v[31:32], v[29:30], v[50:51]
	v_add_f64 v[24:25], v[24:25], -v[33:34]
	v_add_f64 v[33:34], v[50:51], -v[33:34]
	;; [unrolled: 1-line block ×5, first 2 shown]
	v_add_f64 v[24:25], v[24:25], v[33:34]
	v_add_f64 v[33:34], v[48:49], -v[22:23]
	v_add_f64 v[14:15], v[14:15], -v[33:34]
	v_add_f64 v[33:34], v[48:49], -v[33:34]
	v_add_f64 v[33:34], v[22:23], -v[33:34]
	v_add_f64 v[14:15], v[14:15], v[33:34]
	v_add_f64 v[14:15], v[14:15], v[24:25]
	;; [unrolled: 1-line block ×3, first 2 shown]
	v_ldexp_f64 v[14:15], v[37:38], 2
	v_add_f64 v[12:13], v[29:30], v[12:13]
	v_cndmask_b32_e32 v15, 0, v15, vcc
	v_cndmask_b32_e32 v14, 0, v14, vcc
	v_add_f64 v[20:21], v[31:32], v[14:15]
	v_cmp_gt_f64_e32 vcc, 0, v[20:21]
	v_mov_b32_e32 v20, 0x40100000
	v_cndmask_b32_e32 v21, 0, v20, vcc
	v_mov_b32_e32 v20, 0
	v_add_f64 v[14:15], v[14:15], v[20:21]
	v_add_f64 v[21:22], v[31:32], v[14:15]
	v_cvt_i32_f64_e32 v24, v[21:22]
	v_cvt_f64_i32_e32 v[21:22], v24
	v_add_f64 v[14:15], v[14:15], -v[21:22]
	v_add_f64 v[22:23], v[31:32], v[14:15]
	v_add_f64 v[14:15], v[22:23], -v[14:15]
	v_cmp_le_f64_e32 vcc, 0.5, v[22:23]
	v_add_f64 v[14:15], v[31:32], -v[14:15]
	v_addc_co_u32_e64 v27, s[4:5], 0, v24, vcc
	s_mov_b32 s4, 0x54442d18
	s_mov_b32 s5, 0x3ff921fb
	v_add_f64 v[12:13], v[12:13], v[14:15]
	v_mov_b32_e32 v14, 0x3ff00000
	v_cndmask_b32_e32 v21, 0, v14, vcc
	v_add_f64 v[14:15], v[22:23], -v[20:21]
	v_add_f64 v[20:21], v[14:15], v[12:13]
	v_add_f64 v[14:15], v[20:21], -v[14:15]
	v_add_f64 v[12:13], v[12:13], -v[14:15]
	v_mul_f64 v[14:15], v[20:21], s[4:5]
	v_fma_f64 v[22:23], v[20:21], s[4:5], -v[14:15]
	v_fma_f64 v[20:21], v[20:21], s[12:13], v[22:23]
	v_fma_f64 v[20:21], v[12:13], s[4:5], v[20:21]
	v_add_f64 v[12:13], v[14:15], v[20:21]
	v_add_f64 v[14:15], v[12:13], -v[14:15]
	v_add_f64 v[14:15], v[20:21], -v[14:15]
	s_andn2_saveexec_b64 s[4:5], s[10:11]
	s_cbranch_execnz .LBB1_18
	s_branch .LBB1_19
.LBB1_17:
	s_andn2_saveexec_b64 s[4:5], s[10:11]
	s_cbranch_execz .LBB1_19
.LBB1_18:
	s_mov_b32 s10, 0x6dc9c883
	s_mov_b32 s11, 0x3fe45f30
	v_mul_f64 v[12:13], |v[6:7]|, s[10:11]
	s_mov_b32 s10, 0x54442d18
	s_mov_b32 s11, 0xbff921fb
	;; [unrolled: 1-line block ×4, first 2 shown]
	v_rndne_f64_e32 v[20:21], v[12:13]
	v_fma_f64 v[12:13], v[20:21], s[10:11], |v[6:7]|
	v_mul_f64 v[14:15], v[20:21], s[12:13]
	s_mov_b32 s10, 0x252049c0
	s_mov_b32 s11, 0xb97b839a
	v_cvt_i32_f64_e32 v27, v[20:21]
	v_fma_f64 v[29:30], v[20:21], s[12:13], v[12:13]
	v_add_f64 v[22:23], v[12:13], v[14:15]
	s_mov_b32 s13, 0x3c91a626
	v_add_f64 v[24:25], v[12:13], -v[22:23]
	v_add_f64 v[22:23], v[22:23], -v[29:30]
	v_add_f64 v[12:13], v[24:25], v[14:15]
	v_fma_f64 v[14:15], v[20:21], s[12:13], v[14:15]
	v_add_f64 v[12:13], v[22:23], v[12:13]
	v_add_f64 v[12:13], v[12:13], -v[14:15]
	v_fma_f64 v[14:15], v[20:21], s[10:11], v[12:13]
	v_add_f64 v[12:13], v[29:30], v[14:15]
	v_add_f64 v[22:23], v[12:13], -v[29:30]
	v_add_f64 v[14:15], v[14:15], -v[22:23]
.LBB1_19:
	s_or_b64 exec, exec, s[4:5]
	v_mul_f64 v[20:21], v[8:9], v[8:9]
	s_mov_b32 s4, 0
	s_mov_b32 s5, 0x40390000
	;; [unrolled: 1-line block ×7, first 2 shown]
	v_div_scale_f64 v[22:23], s[10:11], v[20:21], v[20:21], s[4:5]
	s_mov_b32 s10, 0x46cc5e42
	s_mov_b32 s11, 0xbda907db
	;; [unrolled: 1-line block ×13, first 2 shown]
	v_mul_f64 v[50:51], v[18:19], 0.5
	v_rcp_f64_e32 v[24:25], v[22:23]
	s_mov_b32 s23, 0xbfc55555
	s_mov_b32 s22, s18
	;; [unrolled: 1-line block ×3, first 2 shown]
	v_mov_b32_e32 v39, 0x7ff80000
	s_mov_b32 s41, 0x40140000
	v_fma_f64 v[29:30], -v[22:23], v[24:25], 1.0
	v_fma_f64 v[24:25], v[24:25], v[29:30], v[24:25]
	v_fma_f64 v[29:30], -v[22:23], v[24:25], 1.0
	v_fma_f64 v[24:25], v[24:25], v[29:30], v[24:25]
	v_div_scale_f64 v[29:30], vcc, s[4:5], v[20:21], s[4:5]
	v_mul_f64 v[31:32], v[29:30], v[24:25]
	v_fma_f64 v[22:23], -v[22:23], v[31:32], v[29:30]
	v_mov_b32_e32 v29, 0x38a5384a
	v_mov_b32_e32 v30, 0xbf874742
	v_div_fmas_f64 v[22:23], v[22:23], v[24:25], v[31:32]
	v_mov_b32_e32 v24, 0xce039737
	v_mov_b32_e32 v25, 0x3f4e4a80
	;; [unrolled: 1-line block ×4, first 2 shown]
	v_div_fixup_f64 v[20:21], v[22:23], v[20:21], s[4:5]
	v_mov_b32_e32 v22, 0x983b6b27
	v_mov_b32_e32 v23, 0x3f4a1d30
	s_mov_b32 s4, 0xb35dd1cf
	s_mov_b32 s5, 0x3fb534b0
	v_fma_f64 v[22:23], v[20:21], 0, v[22:23]
	v_fma_f64 v[24:25], v[20:21], 0, v[24:25]
	;; [unrolled: 1-line block ×5, first 2 shown]
	s_mov_b32 s4, 0x4e680b98
	s_mov_b32 s5, 0x3ff3d521
	v_fma_f64 v[22:23], v[20:21], v[22:23], s[4:5]
	s_mov_b32 s4, 0xe97a0956
	s_mov_b32 s5, 0x4015c9fb
	v_fma_f64 v[22:23], v[20:21], v[22:23], s[4:5]
	;; [unrolled: 3-line block ×10, first 2 shown]
	s_mov_b32 s4, 0xf50e2c0c
	s_mov_b32 s5, 0xc0338dcf
	v_fma_f64 v[24:25], v[20:21], v[24:25], 1.0
	v_fma_f64 v[29:30], v[20:21], v[29:30], s[4:5]
	s_mov_b32 s4, 0x5a6de8c4
	s_mov_b32 s5, 0xc0574d2f
	v_fma_f64 v[29:30], v[20:21], v[29:30], s[4:5]
	s_mov_b32 s4, 0x20cae8ea
	s_mov_b32 s5, 0xc06635cc
	;; [unrolled: 3-line block ×11, first 2 shown]
	v_fma_f64 v[31:32], v[20:21], v[31:32], s[4:5]
	v_fma_f64 v[20:21], v[20:21], v[22:23], 1.0
	v_div_scale_f64 v[22:23], s[4:5], v[24:25], v[24:25], v[20:21]
	s_mov_b32 s4, 0x9037ab78
	s_mov_b32 s5, 0x3e21eeb6
	v_rcp_f64_e32 v[33:34], v[22:23]
	v_fma_f64 v[35:36], -v[22:23], v[33:34], 1.0
	v_fma_f64 v[33:34], v[33:34], v[35:36], v[33:34]
	v_fma_f64 v[35:36], -v[22:23], v[33:34], 1.0
	v_fma_f64 v[33:34], v[33:34], v[35:36], v[33:34]
	v_div_scale_f64 v[35:36], vcc, v[20:21], v[24:25], v[20:21]
	v_mul_f64 v[37:38], v[35:36], v[33:34]
	v_fma_f64 v[22:23], -v[22:23], v[37:38], v[35:36]
	s_nop 1
	v_div_fmas_f64 v[22:23], v[22:23], v[33:34], v[37:38]
	v_mov_b32_e32 v38, s5
	v_mov_b32_e32 v37, s4
	s_mov_b32 s4, 0xb42fdfa7
	s_mov_b32 s5, 0xbe5ae600
	v_div_fixup_f64 v[20:21], v[22:23], v[24:25], v[20:21]
	v_mul_f64 v[22:23], v[16:17], v[16:17]
	v_mul_f64 v[24:25], v[22:23], 0.5
	v_fma_f64 v[48:49], v[22:23], s[10:11], v[37:38]
	v_add_f64 v[33:34], -v[24:25], 1.0
	v_fma_f64 v[48:49], v[22:23], v[48:49], s[14:15]
	v_add_f64 v[35:36], -v[33:34], 1.0
	v_fma_f64 v[48:49], v[22:23], v[48:49], s[12:13]
	v_add_f64 v[24:25], v[35:36], -v[24:25]
	v_fma_f64 v[48:49], v[22:23], v[48:49], s[16:17]
	v_mul_f64 v[35:36], v[22:23], v[22:23]
	v_fma_f64 v[24:25], v[16:17], -v[18:19], v[24:25]
	v_fma_f64 v[48:49], v[22:23], v[48:49], s[18:19]
	v_fma_f64 v[24:25], v[35:36], v[48:49], v[24:25]
	v_mul_f64 v[48:49], v[16:17], -v[22:23]
	v_add_f64 v[24:25], v[33:34], v[24:25]
	v_mov_b32_e32 v34, s5
	v_mov_b32_e32 v33, s4
	v_fma_f64 v[35:36], v[22:23], s[20:21], v[33:34]
	s_movk_i32 s4, 0x1f8
	v_cmp_class_f64_e64 s[4:5], v[6:7], s4
	v_fma_f64 v[35:36], v[22:23], v[35:36], s[28:29]
	v_fma_f64 v[35:36], v[22:23], v[35:36], s[24:25]
	;; [unrolled: 1-line block ×4, first 2 shown]
	v_fma_f64 v[18:19], v[22:23], v[35:36], -v[18:19]
	v_fma_f64 v[18:19], v[48:49], s[22:23], v[18:19]
	v_add_f64 v[16:17], v[16:17], -v[18:19]
	v_and_b32_e32 v18, 1, v28
	v_cmp_eq_u32_e32 vcc, 0, v18
	v_lshlrev_b32_e32 v18, 30, v28
	v_xor_b32_e32 v18, v18, v7
	v_and_b32_e32 v18, 0x80000000, v18
	v_cndmask_b32_e32 v17, v25, v17, vcc
	v_cndmask_b32_e32 v16, v24, v16, vcc
	v_xor_b32_e32 v17, v17, v18
	v_cndmask_b32_e64 v6, 0, v16, s[4:5]
	v_cndmask_b32_e64 v7, v39, v17, s[4:5]
	v_div_scale_f64 v[16:17], s[42:43], v[8:9], v[8:9], s[40:41]
	v_rcp_f64_e32 v[18:19], v[16:17]
	v_fma_f64 v[22:23], -v[16:17], v[18:19], 1.0
	v_fma_f64 v[18:19], v[18:19], v[22:23], v[18:19]
	v_fma_f64 v[22:23], -v[16:17], v[18:19], 1.0
	v_fma_f64 v[18:19], v[18:19], v[22:23], v[18:19]
	v_div_scale_f64 v[22:23], vcc, s[40:41], v[8:9], s[40:41]
	v_mul_f64 v[24:25], v[22:23], v[18:19]
	v_fma_f64 v[16:17], -v[16:17], v[24:25], v[22:23]
	s_nop 1
	v_div_fmas_f64 v[16:17], v[16:17], v[18:19], v[24:25]
	v_div_fixup_f64 v[16:17], v[16:17], v[8:9], s[40:41]
	v_div_scale_f64 v[18:19], s[40:41], v[31:32], v[31:32], v[29:30]
	v_rcp_f64_e32 v[22:23], v[18:19]
	v_fma_f64 v[24:25], -v[18:19], v[22:23], 1.0
	v_fma_f64 v[22:23], v[22:23], v[24:25], v[22:23]
	v_fma_f64 v[24:25], -v[18:19], v[22:23], 1.0
	v_fma_f64 v[22:23], v[22:23], v[24:25], v[22:23]
	v_div_scale_f64 v[24:25], vcc, v[29:30], v[31:32], v[29:30]
	v_mul_f64 v[35:36], v[24:25], v[22:23]
	v_fma_f64 v[18:19], -v[18:19], v[35:36], v[24:25]
	s_nop 1
	v_div_fmas_f64 v[18:19], v[18:19], v[22:23], v[35:36]
	v_div_fixup_f64 v[18:19], v[18:19], v[31:32], v[29:30]
	v_mul_f64 v[16:17], v[16:17], v[18:19]
	v_mul_f64 v[18:19], v[12:13], v[12:13]
	v_mul_f64 v[22:23], v[18:19], 0.5
	v_fma_f64 v[30:31], v[18:19], s[10:11], v[37:38]
	v_add_f64 v[24:25], -v[22:23], 1.0
	v_fma_f64 v[30:31], v[18:19], v[30:31], s[14:15]
	v_add_f64 v[28:29], -v[24:25], 1.0
	v_fma_f64 v[30:31], v[18:19], v[30:31], s[12:13]
	v_add_f64 v[22:23], v[28:29], -v[22:23]
	v_fma_f64 v[30:31], v[18:19], v[30:31], s[16:17]
	v_mul_f64 v[28:29], v[18:19], v[18:19]
	v_fma_f64 v[22:23], v[12:13], -v[14:15], v[22:23]
	v_fma_f64 v[30:31], v[18:19], v[30:31], s[18:19]
	v_fma_f64 v[22:23], v[28:29], v[30:31], v[22:23]
	v_mul_f64 v[28:29], v[12:13], -v[18:19]
	v_mul_f64 v[30:31], v[14:15], 0.5
	v_add_f64 v[22:23], v[24:25], v[22:23]
	v_fma_f64 v[24:25], v[18:19], s[20:21], v[33:34]
	v_fma_f64 v[24:25], v[18:19], v[24:25], s[28:29]
	;; [unrolled: 1-line block ×5, first 2 shown]
	v_fma_f64 v[14:15], v[18:19], v[24:25], -v[14:15]
	v_fma_f64 v[14:15], v[28:29], s[22:23], v[14:15]
	v_add_f64 v[12:13], v[12:13], -v[14:15]
	v_and_b32_e32 v14, 1, v27
	v_cmp_eq_u32_e32 vcc, 0, v14
	v_lshlrev_b32_e32 v14, 30, v27
	v_and_b32_e32 v14, 0x80000000, v14
	v_xor_b32_e32 v13, 0x80000000, v13
	v_cndmask_b32_e32 v13, v13, v23, vcc
	v_cndmask_b32_e32 v12, v12, v22, vcc
	v_xor_b32_e32 v13, v13, v14
	v_cndmask_b32_e64 v12, 0, v12, s[4:5]
	v_cndmask_b32_e64 v13, v39, v13, s[4:5]
	v_mul_f64 v[12:13], v[16:17], v[12:13]
	s_mov_b32 s4, 0x33d43651
	s_mov_b32 s5, 0x3fe98845
	v_fma_f64 v[6:7], v[20:21], v[6:7], v[12:13]
	v_mov_b32_e32 v12, 0x100
	v_mul_f64 v[6:7], v[6:7], s[4:5]
	s_mov_b32 s4, 0
	s_brev_b32 s5, 8
	v_cmp_gt_f64_e32 vcc, s[4:5], v[8:9]
	v_cndmask_b32_e32 v12, 0, v12, vcc
	v_ldexp_f64 v[8:9], v[8:9], v12
	v_rsq_f64_e32 v[12:13], v[8:9]
	v_mul_f64 v[14:15], v[8:9], v[12:13]
	v_mul_f64 v[12:13], v[12:13], 0.5
	v_fma_f64 v[16:17], -v[12:13], v[14:15], 0.5
	v_fma_f64 v[14:15], v[14:15], v[16:17], v[14:15]
	v_fma_f64 v[12:13], v[12:13], v[16:17], v[12:13]
	v_fma_f64 v[18:19], -v[14:15], v[14:15], v[8:9]
	v_fma_f64 v[14:15], v[18:19], v[12:13], v[14:15]
	v_fma_f64 v[16:17], -v[14:15], v[14:15], v[8:9]
	v_fma_f64 v[12:13], v[16:17], v[12:13], v[14:15]
	v_mov_b32_e32 v14, 0xffffff80
	v_cndmask_b32_e32 v14, 0, v14, vcc
	v_ldexp_f64 v[12:13], v[12:13], v14
	v_mov_b32_e32 v14, 0x260
	v_cmp_class_f64_e32 vcc, v[8:9], v14
	v_cndmask_b32_e32 v9, v13, v9, vcc
	v_cndmask_b32_e32 v8, v12, v8, vcc
	v_div_scale_f64 v[12:13], s[4:5], v[8:9], v[8:9], v[6:7]
	v_rcp_f64_e32 v[14:15], v[12:13]
	v_fma_f64 v[16:17], -v[12:13], v[14:15], 1.0
	v_fma_f64 v[14:15], v[14:15], v[16:17], v[14:15]
	v_fma_f64 v[16:17], -v[12:13], v[14:15], 1.0
	v_fma_f64 v[14:15], v[14:15], v[16:17], v[14:15]
	v_div_scale_f64 v[16:17], vcc, v[6:7], v[8:9], v[6:7]
	v_mul_f64 v[18:19], v[16:17], v[14:15]
	v_fma_f64 v[12:13], -v[12:13], v[18:19], v[16:17]
	s_nop 1
	v_div_fmas_f64 v[12:13], v[12:13], v[14:15], v[18:19]
	v_div_fixup_f64 v[6:7], v[12:13], v[8:9], v[6:7]
.LBB1_20:
	s_or_b64 exec, exec, s[8:9]
	s_mov_b32 s4, 0
	s_mov_b32 s5, 0x40140000
	v_cmp_ge_f64_e32 vcc, s[4:5], v[10:11]
	s_and_saveexec_b64 s[4:5], vcc
	s_xor_b64 s[4:5], exec, s[4:5]
	s_cbranch_execz .LBB1_30
; %bb.21:
	v_cmp_neq_f64_e32 vcc, 0, v[10:11]
	v_mov_b32_e32 v8, 0
	v_mov_b32_e32 v9, 0xfff00000
	s_and_saveexec_b64 s[8:9], vcc
	s_cbranch_execz .LBB1_29
; %bb.22:
	v_cmp_ngt_f64_e32 vcc, 0, v[10:11]
	v_mov_b32_e32 v8, 0
	v_mov_b32_e32 v9, 0x7ff80000
	s_and_saveexec_b64 s[10:11], vcc
	s_cbranch_execz .LBB1_28
; %bb.23:
	v_mul_f64 v[8:9], v[10:11], v[10:11]
	s_mov_b32 s12, 0x88e368f1
	s_mov_b32 s13, 0x3ee4f8b5
	v_cmp_ngt_f64_e32 vcc, s[12:13], v[10:11]
                                        ; implicit-def: $vgpr12_vgpr13
	v_mul_f64 v[14:15], v[8:9], 0
	s_and_saveexec_b64 s[12:13], vcc
	s_xor_b64 s[12:13], exec, s[12:13]
	s_cbranch_execz .LBB1_25
; %bb.24:
	s_mov_b32 s14, 0xa696b78c
	s_mov_b32 s15, 0x407f3902
	v_add_f64 v[12:13], v[14:15], s[14:15]
	s_mov_b32 s14, 0x36a21a67
	s_mov_b32 s15, 0x410536cb
	;; [unrolled: 1-line block ×7, first 2 shown]
	v_fma_f64 v[12:13], v[8:9], v[12:13], s[14:15]
	s_mov_b32 s14, 0x2eac0634
	s_mov_b32 s15, 0x41871934
	;; [unrolled: 1-line block ×3, first 2 shown]
	v_fma_f64 v[12:13], v[8:9], v[12:13], s[14:15]
	s_mov_b32 s14, 0xad1c8325
	s_mov_b32 s15, 0xc1f1dc53
	v_add_f64 v[16:17], v[14:15], s[14:15]
	s_mov_b32 s14, 0xe0d900f7
	s_mov_b32 s15, 0xc2ec5614
	v_fma_f64 v[12:13], v[8:9], v[12:13], s[18:19]
	s_mov_b32 s18, 0x72182e46
	s_mov_b32 s19, 0x427ebeb3
	v_fma_f64 v[16:17], v[8:9], v[16:17], s[16:17]
	s_mov_b32 s16, 0x80462bbb
	s_mov_b32 s17, 0xc01721fb
	v_add_f64 v[18:19], v[8:9], s[16:17]
	s_mov_b32 s16, 0x69ff5fb4
	v_fma_f64 v[12:13], v[8:9], v[12:13], s[18:19]
	s_mov_b32 s18, 0xa621dd6f
	s_mov_b32 s19, 0xc03e78a4
	v_add_f64 v[20:21], v[8:9], s[18:19]
	v_fma_f64 v[16:17], v[8:9], v[16:17], s[14:15]
	s_mov_b32 s14, 0x7e7b2e9c
	s_mov_b32 s15, 0x435c4141
	;; [unrolled: 1-line block ×3, first 2 shown]
	v_fma_f64 v[12:13], v[8:9], v[12:13], s[20:21]
	v_mul_f64 v[18:19], v[18:19], v[20:21]
	v_fma_f64 v[16:17], v[8:9], v[16:17], s[16:17]
	v_fma_f64 v[12:13], v[8:9], v[12:13], s[14:15]
	s_mov_b32 s14, 0xc7b662cc
	s_mov_b32 s15, 0x43b7be34
	v_mul_f64 v[16:17], v[18:19], v[16:17]
	v_fma_f64 v[12:13], v[8:9], v[12:13], s[14:15]
	v_div_scale_f64 v[18:19], s[14:15], v[12:13], v[12:13], v[16:17]
	v_div_scale_f64 v[24:25], vcc, v[16:17], v[12:13], v[16:17]
	v_rcp_f64_e32 v[20:21], v[18:19]
	v_fma_f64 v[22:23], -v[18:19], v[20:21], 1.0
	v_fma_f64 v[20:21], v[20:21], v[22:23], v[20:21]
	v_fma_f64 v[22:23], -v[18:19], v[20:21], 1.0
	v_fma_f64 v[20:21], v[20:21], v[22:23], v[20:21]
	v_mul_f64 v[22:23], v[24:25], v[20:21]
	v_fma_f64 v[18:19], -v[18:19], v[22:23], v[24:25]
	v_div_fmas_f64 v[18:19], v[18:19], v[20:21], v[22:23]
	v_div_fixup_f64 v[12:13], v[18:19], v[12:13], v[16:17]
.LBB1_25:
	s_andn2_saveexec_b64 s[12:13], s[12:13]
	s_cbranch_execz .LBB1_27
; %bb.26:
	s_mov_b32 s14, 0
	s_mov_b32 s15, 0xbfd00000
	v_fma_f64 v[12:13], v[8:9], s[14:15], 1.0
.LBB1_27:
	s_or_b64 exec, exec, s[12:13]
	v_frexp_mant_f64_e32 v[16:17], v[10:11]
	s_mov_b32 s13, 0x3fe55555
	s_mov_b32 s12, 0x55555555
	;; [unrolled: 1-line block ×7, first 2 shown]
	v_cmp_gt_f64_e32 vcc, s[12:13], v[16:17]
	s_mov_b32 s25, 0x3fcc71c0
	s_mov_b32 s16, 0x32e48896
	;; [unrolled: 1-line block ×7, first 2 shown]
	v_cndmask_b32_e64 v18, 0, 1, vcc
	v_ldexp_f64 v[16:17], v[16:17], v18
	s_mov_b32 s23, 0x42d3ea72
	s_mov_b32 s26, 0x660b4003
	;; [unrolled: 1-line block ×3, first 2 shown]
	v_add_f64 v[18:19], v[16:17], 1.0
	v_add_f64 v[24:25], v[16:17], -1.0
	v_rcp_f64_e32 v[20:21], v[18:19]
	v_add_f64 v[27:28], v[18:19], -1.0
	v_add_f64 v[16:17], v[16:17], -v[27:28]
	v_fma_f64 v[22:23], -v[18:19], v[20:21], 1.0
	v_fma_f64 v[20:21], v[22:23], v[20:21], v[20:21]
	v_fma_f64 v[22:23], -v[18:19], v[20:21], 1.0
	v_fma_f64 v[20:21], v[22:23], v[20:21], v[20:21]
	v_mul_f64 v[22:23], v[24:25], v[20:21]
	v_mul_f64 v[29:30], v[18:19], v[22:23]
	v_fma_f64 v[18:19], v[22:23], v[18:19], -v[29:30]
	v_fma_f64 v[16:17], v[22:23], v[16:17], v[18:19]
	v_add_f64 v[18:19], v[29:30], v[16:17]
	v_add_f64 v[27:28], v[24:25], -v[18:19]
	v_add_f64 v[29:30], v[18:19], -v[29:30]
	;; [unrolled: 1-line block ×5, first 2 shown]
	v_mov_b32_e32 v24, 0x6b47b09a
	v_mov_b32_e32 v25, 0x3fc38538
	v_add_f64 v[16:17], v[16:17], v[18:19]
	v_add_f64 v[16:17], v[27:28], v[16:17]
	v_mul_f64 v[16:17], v[20:21], v[16:17]
	v_add_f64 v[18:19], v[22:23], v[16:17]
	v_mul_f64 v[20:21], v[18:19], v[18:19]
	v_fma_f64 v[24:25], v[20:21], s[14:15], v[24:25]
	s_mov_b32 s14, 0xe896898f
	s_mov_b32 s15, 0x40ce7437
	v_add_f64 v[27:28], v[14:15], s[14:15]
	s_mov_b32 s14, 0x9b27acf1
	s_mov_b32 s15, 0x3fd24924
	v_mul_f64 v[29:30], v[18:19], v[20:21]
	v_fma_f64 v[24:25], v[20:21], v[24:25], s[18:19]
	s_mov_b32 s18, 0xf0284cdd
	s_mov_b32 s19, 0x41f43f78
	v_fma_f64 v[27:28], v[8:9], v[27:28], s[16:17]
	s_mov_b32 s16, 0x5164d101
	s_mov_b32 s17, 0x41b00763
	v_fma_f64 v[24:25], v[20:21], v[24:25], s[24:25]
	s_mov_b32 s24, 0xd1d8cc02
	s_mov_b32 s25, 0xc328a121
	v_fma_f64 v[27:28], v[8:9], v[27:28], s[18:19]
	v_fma_f64 v[24:25], v[20:21], v[24:25], s[14:15]
	s_mov_b32 s14, 0x576dfcb6
	s_mov_b32 s15, 0x40904522
	v_add_f64 v[14:15], v[14:15], s[14:15]
	s_mov_b32 s14, 0x998ef7b6
	s_mov_b32 s15, 0x3fd99999
	v_fma_f64 v[24:25], v[20:21], v[24:25], s[14:15]
	s_mov_b32 s14, 0xa907bc0c
	s_mov_b32 s15, 0x41231b76
	v_fma_f64 v[14:15], v[8:9], v[14:15], s[14:15]
	;; [unrolled: 3-line block ×3, first 2 shown]
	v_fma_f64 v[24:25], v[8:9], v[27:28], s[20:21]
	v_ldexp_f64 v[27:28], v[18:19], 1
	v_fma_f64 v[14:15], v[8:9], v[14:15], s[16:17]
	s_mov_b32 s12, 0x2b8664bc
	s_mov_b32 s13, 0x42341ddb
	v_add_f64 v[18:19], v[18:19], -v[22:23]
	s_mov_b32 s16, 0xdfeb596d
	v_mul_f64 v[20:21], v[29:30], v[20:21]
	v_frexp_exp_i32_f64_e32 v29, v[10:11]
	s_mov_b32 s17, 0x43268910
	v_fma_f64 v[10:11], v[8:9], v[14:15], s[12:13]
	v_fma_f64 v[14:15], v[8:9], v[24:25], s[22:23]
	s_mov_b32 s12, 0xfefa39ef
	s_mov_b32 s13, 0x3fe62e42
	v_add_f64 v[16:17], v[16:17], -v[18:19]
	v_add_f64 v[22:23], v[27:28], v[20:21]
	v_subbrev_co_u32_e32 v24, vcc, 0, v29, vcc
	v_cvt_f64_i32_e32 v[24:25], v24
	v_fma_f64 v[10:11], v[8:9], v[10:11], s[14:15]
	v_fma_f64 v[14:15], v[8:9], v[14:15], s[24:25]
	s_mov_b32 s14, 0xbcf9b5d0
	v_mul_f64 v[29:30], v[24:25], s[12:13]
	v_add_f64 v[18:19], v[22:23], -v[27:28]
	v_ldexp_f64 v[16:17], v[16:17], 1
	s_mov_b32 s15, 0x438bd25f
	v_fma_f64 v[10:11], v[8:9], v[10:11], s[16:17]
	v_fma_f64 v[14:15], v[8:9], v[14:15], s[26:27]
	v_fma_f64 v[27:28], v[24:25], s[12:13], -v[29:30]
	v_add_f64 v[18:19], v[20:21], -v[18:19]
	s_mov_b32 s12, 0x5906367b
	s_mov_b32 s13, 0xc3506d4b
	v_fma_f64 v[10:11], v[8:9], v[10:11], s[14:15]
	v_fma_f64 v[8:9], v[8:9], v[14:15], s[12:13]
	s_mov_b32 s12, 0x3b39803f
	s_mov_b32 s13, 0x3c7abc9e
	v_fma_f64 v[14:15], v[24:25], s[12:13], v[27:28]
	v_add_f64 v[16:17], v[16:17], v[18:19]
	v_div_scale_f64 v[18:19], s[12:13], v[10:11], v[10:11], v[8:9]
	s_mov_b32 s12, 0x6dc9c883
	v_add_f64 v[20:21], v[29:30], v[14:15]
	v_add_f64 v[24:25], v[22:23], v[16:17]
	s_mov_b32 s13, 0x3fe45f30
	v_add_f64 v[29:30], v[20:21], -v[29:30]
	v_add_f64 v[27:28], v[20:21], v[24:25]
	v_add_f64 v[22:23], v[24:25], -v[22:23]
	v_rcp_f64_e32 v[31:32], v[18:19]
	v_add_f64 v[14:15], v[14:15], -v[29:30]
	v_add_f64 v[33:34], v[27:28], -v[20:21]
	;; [unrolled: 1-line block ×5, first 2 shown]
	v_add_f64 v[29:30], v[14:15], v[16:17]
	v_fma_f64 v[37:38], -v[18:19], v[31:32], 1.0
	v_add_f64 v[20:21], v[20:21], -v[35:36]
	v_add_f64 v[33:34], v[29:30], -v[14:15]
	v_fma_f64 v[24:25], v[31:32], v[37:38], v[31:32]
	v_div_scale_f64 v[31:32], vcc, v[8:9], v[10:11], v[8:9]
	v_add_f64 v[20:21], v[22:23], v[20:21]
	v_add_f64 v[16:17], v[16:17], -v[33:34]
	v_fma_f64 v[22:23], -v[18:19], v[24:25], 1.0
	v_add_f64 v[20:21], v[29:30], v[20:21]
	v_fma_f64 v[22:23], v[24:25], v[22:23], v[24:25]
	v_add_f64 v[24:25], v[29:30], -v[33:34]
	v_add_f64 v[29:30], v[27:28], v[20:21]
	v_mul_f64 v[35:36], v[31:32], v[22:23]
	v_add_f64 v[14:15], v[14:15], -v[24:25]
	v_add_f64 v[24:25], v[29:30], -v[27:28]
	v_fma_f64 v[18:19], -v[18:19], v[35:36], v[31:32]
	v_add_f64 v[14:15], v[16:17], v[14:15]
	v_add_f64 v[16:17], v[20:21], -v[24:25]
	v_div_fmas_f64 v[18:19], v[18:19], v[22:23], v[35:36]
	v_add_f64 v[14:15], v[14:15], v[16:17]
	v_add_f64 v[14:15], v[29:30], v[14:15]
	v_div_fixup_f64 v[8:9], v[18:19], v[10:11], v[8:9]
	v_mul_f64 v[10:11], v[14:15], s[12:13]
	v_fma_f64 v[8:9], v[10:11], v[12:13], v[8:9]
.LBB1_28:
	s_or_b64 exec, exec, s[10:11]
.LBB1_29:
	s_or_b64 exec, exec, s[8:9]
                                        ; implicit-def: $vgpr10_vgpr11
.LBB1_30:
	s_andn2_saveexec_b64 s[8:9], s[4:5]
	s_cbranch_execz .LBB1_40
; %bb.31:
	s_mov_b32 s13, 0xbfe921fb
	s_mov_b32 s12, 0x54442d18
	v_add_f64 v[8:9], v[10:11], s[12:13]
	s_mov_b32 s4, 0
	s_mov_b32 s5, 0x41d00000
                                        ; implicit-def: $vgpr28
                                        ; implicit-def: $vgpr16_vgpr17
                                        ; implicit-def: $vgpr18_vgpr19
	v_trig_preop_f64 v[24:25], |v[8:9]|, 0
	v_trig_preop_f64 v[22:23], |v[8:9]|, 1
	;; [unrolled: 1-line block ×3, first 2 shown]
	v_cmp_nlt_f64_e64 s[10:11], |v[8:9]|, s[4:5]
	s_and_saveexec_b64 s[4:5], s[10:11]
	s_xor_b64 s[14:15], exec, s[4:5]
	s_cbranch_execz .LBB1_33
; %bb.32:
	s_mov_b32 s4, 0
	s_mov_b32 s5, 0x7b000000
	v_cmp_ge_f64_e64 vcc, |v[8:9]|, s[4:5]
	s_movk_i32 s4, 0xff80
	v_ldexp_f64 v[12:13], |v[8:9]|, s4
	v_and_b32_e32 v14, 0x7fffffff, v9
	s_mov_b32 s4, 0
	s_mov_b32 s5, 0x7ff00000
	;; [unrolled: 1-line block ×3, first 2 shown]
	v_cndmask_b32_e32 v13, v14, v13, vcc
	v_cndmask_b32_e32 v12, v8, v12, vcc
	v_mul_f64 v[16:17], v[24:25], v[12:13]
	v_mul_f64 v[14:15], v[22:23], v[12:13]
	v_fma_f64 v[18:19], v[24:25], v[12:13], -v[16:17]
	v_add_f64 v[27:28], v[14:15], v[18:19]
	v_add_f64 v[35:36], v[27:28], -v[14:15]
	v_add_f64 v[29:30], v[16:17], v[27:28]
	v_add_f64 v[18:19], v[18:19], -v[35:36]
	v_add_f64 v[35:36], v[27:28], -v[35:36]
	v_ldexp_f64 v[31:32], v[29:30], -2
	v_add_f64 v[16:17], v[29:30], -v[16:17]
	v_add_f64 v[35:36], v[14:15], -v[35:36]
	v_fma_f64 v[14:15], v[22:23], v[12:13], -v[14:15]
	v_add_f64 v[16:17], v[27:28], -v[16:17]
	v_fract_f64_e32 v[33:34], v[31:32]
	v_cmp_neq_f64_e64 vcc, |v[31:32]|, s[4:5]
	v_add_f64 v[18:19], v[18:19], v[35:36]
	v_mul_f64 v[35:36], v[20:21], v[12:13]
	v_add_f64 v[37:38], v[35:36], v[14:15]
	v_fma_f64 v[12:13], v[20:21], v[12:13], -v[35:36]
	v_add_f64 v[48:49], v[37:38], v[18:19]
	v_add_f64 v[29:30], v[48:49], -v[37:38]
	v_add_f64 v[27:28], v[16:17], v[48:49]
	v_add_f64 v[18:19], v[18:19], -v[29:30]
	v_add_f64 v[29:30], v[48:49], -v[29:30]
	;; [unrolled: 1-line block ×5, first 2 shown]
	v_add_f64 v[18:19], v[18:19], v[29:30]
	v_add_f64 v[29:30], v[37:38], -v[35:36]
	v_add_f64 v[14:15], v[14:15], -v[29:30]
	v_add_f64 v[29:30], v[37:38], -v[29:30]
	v_add_f64 v[29:30], v[35:36], -v[29:30]
	v_add_f64 v[14:15], v[14:15], v[29:30]
	v_add_f64 v[14:15], v[14:15], v[18:19]
	;; [unrolled: 1-line block ×3, first 2 shown]
	v_ldexp_f64 v[14:15], v[33:34], 2
	v_add_f64 v[12:13], v[16:17], v[12:13]
	v_cndmask_b32_e32 v15, 0, v15, vcc
	v_cndmask_b32_e32 v14, 0, v14, vcc
	v_add_f64 v[16:17], v[27:28], v[14:15]
	v_cmp_gt_f64_e32 vcc, 0, v[16:17]
	v_mov_b32_e32 v16, 0x40100000
	v_cndmask_b32_e32 v17, 0, v16, vcc
	v_mov_b32_e32 v16, 0
	v_add_f64 v[14:15], v[14:15], v[16:17]
	v_add_f64 v[17:18], v[27:28], v[14:15]
	v_cvt_i32_f64_e32 v29, v[17:18]
	v_cvt_f64_i32_e32 v[17:18], v29
	v_add_f64 v[14:15], v[14:15], -v[17:18]
	v_add_f64 v[18:19], v[27:28], v[14:15]
	v_add_f64 v[14:15], v[18:19], -v[14:15]
	v_cmp_le_f64_e32 vcc, 0.5, v[18:19]
	v_add_f64 v[14:15], v[27:28], -v[14:15]
	v_addc_co_u32_e64 v28, s[4:5], 0, v29, vcc
	s_mov_b32 s4, 0x33145c07
	s_mov_b32 s5, 0x3c91a626
	v_add_f64 v[12:13], v[12:13], v[14:15]
	v_mov_b32_e32 v14, 0x3ff00000
	v_cndmask_b32_e32 v17, 0, v14, vcc
	v_add_f64 v[14:15], v[18:19], -v[16:17]
	v_add_f64 v[16:17], v[14:15], v[12:13]
	v_add_f64 v[14:15], v[16:17], -v[14:15]
	v_add_f64 v[12:13], v[12:13], -v[14:15]
	v_mul_f64 v[14:15], v[16:17], s[12:13]
	v_fma_f64 v[18:19], v[16:17], s[12:13], -v[14:15]
	v_fma_f64 v[16:17], v[16:17], s[4:5], v[18:19]
	v_fma_f64 v[12:13], v[12:13], s[12:13], v[16:17]
	v_add_f64 v[16:17], v[14:15], v[12:13]
	v_add_f64 v[14:15], v[16:17], -v[14:15]
	v_add_f64 v[18:19], v[12:13], -v[14:15]
	s_andn2_saveexec_b64 s[4:5], s[14:15]
	s_cbranch_execz .LBB1_35
	s_branch .LBB1_34
.LBB1_33:
	s_andn2_saveexec_b64 s[4:5], s[14:15]
	s_cbranch_execz .LBB1_35
.LBB1_34:
	s_mov_b32 s12, 0x6dc9c883
	s_mov_b32 s13, 0x3fe45f30
	v_mul_f64 v[12:13], |v[8:9]|, s[12:13]
	s_mov_b32 s12, 0x54442d18
	s_mov_b32 s13, 0xbff921fb
	s_mov_b32 s15, 0xbc91a626
	s_mov_b32 s14, 0x33145c00
	v_rndne_f64_e32 v[12:13], v[12:13]
	v_fma_f64 v[14:15], v[12:13], s[12:13], |v[8:9]|
	v_mul_f64 v[16:17], v[12:13], s[14:15]
	s_mov_b32 s12, 0x252049c0
	s_mov_b32 s13, 0xb97b839a
	v_add_f64 v[18:19], v[14:15], v[16:17]
	v_add_f64 v[27:28], v[14:15], -v[18:19]
	v_fma_f64 v[14:15], v[12:13], s[14:15], v[14:15]
	s_mov_b32 s15, 0x3c91a626
	v_add_f64 v[27:28], v[27:28], v[16:17]
	v_add_f64 v[18:19], v[18:19], -v[14:15]
	v_fma_f64 v[16:17], v[12:13], s[14:15], v[16:17]
	v_add_f64 v[18:19], v[18:19], v[27:28]
	v_cvt_i32_f64_e32 v28, v[12:13]
	v_add_f64 v[16:17], v[18:19], -v[16:17]
	v_fma_f64 v[18:19], v[12:13], s[12:13], v[16:17]
	v_add_f64 v[16:17], v[14:15], v[18:19]
	v_add_f64 v[14:15], v[16:17], -v[14:15]
	v_add_f64 v[18:19], v[18:19], -v[14:15]
.LBB1_35:
	s_or_b64 exec, exec, s[4:5]
                                        ; implicit-def: $vgpr27
                                        ; implicit-def: $vgpr12_vgpr13
                                        ; implicit-def: $vgpr14_vgpr15
	s_and_saveexec_b64 s[4:5], s[10:11]
	s_xor_b64 s[10:11], exec, s[4:5]
	s_cbranch_execz .LBB1_37
; %bb.36:
	s_mov_b32 s4, 0
	s_mov_b32 s5, 0x7b000000
	v_cmp_ge_f64_e64 vcc, |v[8:9]|, s[4:5]
	s_movk_i32 s4, 0xff80
	v_ldexp_f64 v[12:13], |v[8:9]|, s4
	v_and_b32_e32 v14, 0x7fffffff, v9
	s_mov_b32 s4, 0
	s_mov_b32 s5, 0x7ff00000
	;; [unrolled: 1-line block ×4, first 2 shown]
	v_cndmask_b32_e32 v13, v14, v13, vcc
	v_cndmask_b32_e32 v12, v8, v12, vcc
	v_mul_f64 v[29:30], v[24:25], v[12:13]
	v_mul_f64 v[14:15], v[22:23], v[12:13]
	v_fma_f64 v[24:25], v[24:25], v[12:13], -v[29:30]
	v_add_f64 v[31:32], v[14:15], v[24:25]
	v_add_f64 v[48:49], v[31:32], -v[14:15]
	v_add_f64 v[33:34], v[29:30], v[31:32]
	v_add_f64 v[24:25], v[24:25], -v[48:49]
	v_add_f64 v[48:49], v[31:32], -v[48:49]
	v_ldexp_f64 v[35:36], v[33:34], -2
	v_add_f64 v[29:30], v[33:34], -v[29:30]
	v_add_f64 v[48:49], v[14:15], -v[48:49]
	v_fma_f64 v[14:15], v[22:23], v[12:13], -v[14:15]
	v_mul_f64 v[22:23], v[20:21], v[12:13]
	v_fract_f64_e32 v[37:38], v[35:36]
	v_add_f64 v[29:30], v[31:32], -v[29:30]
	v_cmp_neq_f64_e64 vcc, |v[35:36]|, s[4:5]
	v_add_f64 v[24:25], v[24:25], v[48:49]
	v_add_f64 v[48:49], v[22:23], v[14:15]
	v_fma_f64 v[12:13], v[20:21], v[12:13], -v[22:23]
	v_add_f64 v[50:51], v[48:49], v[24:25]
	v_add_f64 v[33:34], v[50:51], -v[48:49]
	v_add_f64 v[31:32], v[29:30], v[50:51]
	v_add_f64 v[24:25], v[24:25], -v[33:34]
	v_add_f64 v[33:34], v[50:51], -v[33:34]
	v_add_f64 v[29:30], v[31:32], -v[29:30]
	v_add_f64 v[33:34], v[48:49], -v[33:34]
	v_add_f64 v[29:30], v[50:51], -v[29:30]
	v_add_f64 v[24:25], v[24:25], v[33:34]
	v_add_f64 v[33:34], v[48:49], -v[22:23]
	v_add_f64 v[14:15], v[14:15], -v[33:34]
	;; [unrolled: 1-line block ×4, first 2 shown]
	v_add_f64 v[14:15], v[14:15], v[33:34]
	v_add_f64 v[14:15], v[14:15], v[24:25]
	;; [unrolled: 1-line block ×3, first 2 shown]
	v_ldexp_f64 v[14:15], v[37:38], 2
	v_add_f64 v[12:13], v[29:30], v[12:13]
	v_cndmask_b32_e32 v15, 0, v15, vcc
	v_cndmask_b32_e32 v14, 0, v14, vcc
	v_add_f64 v[20:21], v[31:32], v[14:15]
	v_cmp_gt_f64_e32 vcc, 0, v[20:21]
	v_mov_b32_e32 v20, 0x40100000
	v_cndmask_b32_e32 v21, 0, v20, vcc
	v_mov_b32_e32 v20, 0
	v_add_f64 v[14:15], v[14:15], v[20:21]
	v_add_f64 v[21:22], v[31:32], v[14:15]
	v_cvt_i32_f64_e32 v24, v[21:22]
	v_cvt_f64_i32_e32 v[21:22], v24
	v_add_f64 v[14:15], v[14:15], -v[21:22]
	v_add_f64 v[22:23], v[31:32], v[14:15]
	v_add_f64 v[14:15], v[22:23], -v[14:15]
	v_cmp_le_f64_e32 vcc, 0.5, v[22:23]
	v_add_f64 v[14:15], v[31:32], -v[14:15]
	v_addc_co_u32_e64 v27, s[4:5], 0, v24, vcc
	s_mov_b32 s4, 0x54442d18
	s_mov_b32 s5, 0x3ff921fb
	v_add_f64 v[12:13], v[12:13], v[14:15]
	v_mov_b32_e32 v14, 0x3ff00000
	v_cndmask_b32_e32 v21, 0, v14, vcc
	v_add_f64 v[14:15], v[22:23], -v[20:21]
	v_add_f64 v[20:21], v[14:15], v[12:13]
	v_add_f64 v[14:15], v[20:21], -v[14:15]
	v_add_f64 v[12:13], v[12:13], -v[14:15]
	v_mul_f64 v[14:15], v[20:21], s[4:5]
	v_fma_f64 v[22:23], v[20:21], s[4:5], -v[14:15]
	v_fma_f64 v[20:21], v[20:21], s[12:13], v[22:23]
	v_fma_f64 v[20:21], v[12:13], s[4:5], v[20:21]
	v_add_f64 v[12:13], v[14:15], v[20:21]
	v_add_f64 v[14:15], v[12:13], -v[14:15]
	v_add_f64 v[14:15], v[20:21], -v[14:15]
	s_andn2_saveexec_b64 s[4:5], s[10:11]
	s_cbranch_execnz .LBB1_38
	s_branch .LBB1_39
.LBB1_37:
	s_andn2_saveexec_b64 s[4:5], s[10:11]
	s_cbranch_execz .LBB1_39
.LBB1_38:
	s_mov_b32 s10, 0x6dc9c883
	s_mov_b32 s11, 0x3fe45f30
	v_mul_f64 v[12:13], |v[8:9]|, s[10:11]
	s_mov_b32 s10, 0x54442d18
	s_mov_b32 s11, 0xbff921fb
	;; [unrolled: 1-line block ×4, first 2 shown]
	v_rndne_f64_e32 v[20:21], v[12:13]
	v_fma_f64 v[12:13], v[20:21], s[10:11], |v[8:9]|
	v_mul_f64 v[14:15], v[20:21], s[12:13]
	s_mov_b32 s10, 0x252049c0
	s_mov_b32 s11, 0xb97b839a
	v_cvt_i32_f64_e32 v27, v[20:21]
	v_fma_f64 v[29:30], v[20:21], s[12:13], v[12:13]
	v_add_f64 v[22:23], v[12:13], v[14:15]
	s_mov_b32 s13, 0x3c91a626
	v_add_f64 v[24:25], v[12:13], -v[22:23]
	v_add_f64 v[22:23], v[22:23], -v[29:30]
	v_add_f64 v[12:13], v[24:25], v[14:15]
	v_fma_f64 v[14:15], v[20:21], s[12:13], v[14:15]
	v_add_f64 v[12:13], v[22:23], v[12:13]
	v_add_f64 v[12:13], v[12:13], -v[14:15]
	v_fma_f64 v[14:15], v[20:21], s[10:11], v[12:13]
	v_add_f64 v[12:13], v[29:30], v[14:15]
	v_add_f64 v[22:23], v[12:13], -v[29:30]
	v_add_f64 v[14:15], v[14:15], -v[22:23]
.LBB1_39:
	s_or_b64 exec, exec, s[4:5]
	v_mul_f64 v[20:21], v[10:11], v[10:11]
	s_mov_b32 s4, 0
	s_mov_b32 s5, 0x40390000
	;; [unrolled: 1-line block ×7, first 2 shown]
	v_div_scale_f64 v[22:23], s[10:11], v[20:21], v[20:21], s[4:5]
	s_mov_b32 s10, 0x46cc5e42
	s_mov_b32 s11, 0xbda907db
	;; [unrolled: 1-line block ×13, first 2 shown]
	v_mul_f64 v[50:51], v[18:19], 0.5
	v_rcp_f64_e32 v[24:25], v[22:23]
	s_mov_b32 s23, 0xbfc55555
	s_mov_b32 s22, s18
	;; [unrolled: 1-line block ×3, first 2 shown]
	v_mov_b32_e32 v39, 0x7ff80000
	s_mov_b32 s41, 0x40140000
	v_fma_f64 v[29:30], -v[22:23], v[24:25], 1.0
	v_fma_f64 v[24:25], v[24:25], v[29:30], v[24:25]
	v_fma_f64 v[29:30], -v[22:23], v[24:25], 1.0
	v_fma_f64 v[24:25], v[24:25], v[29:30], v[24:25]
	v_div_scale_f64 v[29:30], vcc, s[4:5], v[20:21], s[4:5]
	v_mul_f64 v[31:32], v[29:30], v[24:25]
	v_fma_f64 v[22:23], -v[22:23], v[31:32], v[29:30]
	v_mov_b32_e32 v29, 0x38a5384a
	v_mov_b32_e32 v30, 0xbf874742
	v_div_fmas_f64 v[22:23], v[22:23], v[24:25], v[31:32]
	v_mov_b32_e32 v24, 0xce039737
	v_mov_b32_e32 v25, 0x3f4e4a80
	;; [unrolled: 1-line block ×4, first 2 shown]
	v_div_fixup_f64 v[20:21], v[22:23], v[20:21], s[4:5]
	v_mov_b32_e32 v22, 0x983b6b27
	v_mov_b32_e32 v23, 0x3f4a1d30
	s_mov_b32 s4, 0xb35dd1cf
	s_mov_b32 s5, 0x3fb534b0
	v_fma_f64 v[22:23], v[20:21], 0, v[22:23]
	v_fma_f64 v[24:25], v[20:21], 0, v[24:25]
	;; [unrolled: 1-line block ×5, first 2 shown]
	s_mov_b32 s4, 0x4e680b98
	s_mov_b32 s5, 0x3ff3d521
	v_fma_f64 v[22:23], v[20:21], v[22:23], s[4:5]
	s_mov_b32 s4, 0xe97a0956
	s_mov_b32 s5, 0x4015c9fb
	v_fma_f64 v[22:23], v[20:21], v[22:23], s[4:5]
	;; [unrolled: 3-line block ×10, first 2 shown]
	s_mov_b32 s4, 0xf50e2c0c
	s_mov_b32 s5, 0xc0338dcf
	v_fma_f64 v[24:25], v[20:21], v[24:25], 1.0
	v_fma_f64 v[29:30], v[20:21], v[29:30], s[4:5]
	s_mov_b32 s4, 0x5a6de8c4
	s_mov_b32 s5, 0xc0574d2f
	v_fma_f64 v[29:30], v[20:21], v[29:30], s[4:5]
	s_mov_b32 s4, 0x20cae8ea
	s_mov_b32 s5, 0xc06635cc
	;; [unrolled: 3-line block ×11, first 2 shown]
	v_fma_f64 v[31:32], v[20:21], v[31:32], s[4:5]
	v_fma_f64 v[20:21], v[20:21], v[22:23], 1.0
	v_div_scale_f64 v[22:23], s[4:5], v[24:25], v[24:25], v[20:21]
	s_mov_b32 s4, 0x9037ab78
	s_mov_b32 s5, 0x3e21eeb6
	v_rcp_f64_e32 v[33:34], v[22:23]
	v_fma_f64 v[35:36], -v[22:23], v[33:34], 1.0
	v_fma_f64 v[33:34], v[33:34], v[35:36], v[33:34]
	v_fma_f64 v[35:36], -v[22:23], v[33:34], 1.0
	v_fma_f64 v[33:34], v[33:34], v[35:36], v[33:34]
	v_div_scale_f64 v[35:36], vcc, v[20:21], v[24:25], v[20:21]
	v_mul_f64 v[37:38], v[35:36], v[33:34]
	v_fma_f64 v[22:23], -v[22:23], v[37:38], v[35:36]
	s_nop 1
	v_div_fmas_f64 v[22:23], v[22:23], v[33:34], v[37:38]
	v_mov_b32_e32 v38, s5
	v_mov_b32_e32 v37, s4
	s_mov_b32 s4, 0xb42fdfa7
	s_mov_b32 s5, 0xbe5ae600
	v_div_fixup_f64 v[20:21], v[22:23], v[24:25], v[20:21]
	v_mul_f64 v[22:23], v[16:17], v[16:17]
	v_mul_f64 v[24:25], v[22:23], 0.5
	v_fma_f64 v[48:49], v[22:23], s[10:11], v[37:38]
	v_add_f64 v[33:34], -v[24:25], 1.0
	v_fma_f64 v[48:49], v[22:23], v[48:49], s[14:15]
	v_add_f64 v[35:36], -v[33:34], 1.0
	v_fma_f64 v[48:49], v[22:23], v[48:49], s[12:13]
	v_add_f64 v[24:25], v[35:36], -v[24:25]
	v_fma_f64 v[48:49], v[22:23], v[48:49], s[16:17]
	v_mul_f64 v[35:36], v[22:23], v[22:23]
	v_fma_f64 v[24:25], v[16:17], -v[18:19], v[24:25]
	v_fma_f64 v[48:49], v[22:23], v[48:49], s[18:19]
	v_fma_f64 v[24:25], v[35:36], v[48:49], v[24:25]
	v_mul_f64 v[48:49], v[16:17], -v[22:23]
	v_add_f64 v[24:25], v[33:34], v[24:25]
	v_mov_b32_e32 v34, s5
	v_mov_b32_e32 v33, s4
	v_fma_f64 v[35:36], v[22:23], s[20:21], v[33:34]
	s_movk_i32 s4, 0x1f8
	v_cmp_class_f64_e64 s[4:5], v[8:9], s4
	v_fma_f64 v[35:36], v[22:23], v[35:36], s[28:29]
	v_fma_f64 v[35:36], v[22:23], v[35:36], s[24:25]
	;; [unrolled: 1-line block ×4, first 2 shown]
	v_fma_f64 v[18:19], v[22:23], v[35:36], -v[18:19]
	v_fma_f64 v[18:19], v[48:49], s[22:23], v[18:19]
	v_add_f64 v[16:17], v[16:17], -v[18:19]
	v_and_b32_e32 v18, 1, v28
	v_cmp_eq_u32_e32 vcc, 0, v18
	v_lshlrev_b32_e32 v18, 30, v28
	v_xor_b32_e32 v18, v18, v9
	v_and_b32_e32 v18, 0x80000000, v18
	v_cndmask_b32_e32 v17, v25, v17, vcc
	v_cndmask_b32_e32 v16, v24, v16, vcc
	v_xor_b32_e32 v17, v17, v18
	v_cndmask_b32_e64 v8, 0, v16, s[4:5]
	v_cndmask_b32_e64 v9, v39, v17, s[4:5]
	v_div_scale_f64 v[16:17], s[42:43], v[10:11], v[10:11], s[40:41]
	v_rcp_f64_e32 v[18:19], v[16:17]
	v_fma_f64 v[22:23], -v[16:17], v[18:19], 1.0
	v_fma_f64 v[18:19], v[18:19], v[22:23], v[18:19]
	v_fma_f64 v[22:23], -v[16:17], v[18:19], 1.0
	v_fma_f64 v[18:19], v[18:19], v[22:23], v[18:19]
	v_div_scale_f64 v[22:23], vcc, s[40:41], v[10:11], s[40:41]
	v_mul_f64 v[24:25], v[22:23], v[18:19]
	v_fma_f64 v[16:17], -v[16:17], v[24:25], v[22:23]
	s_nop 1
	v_div_fmas_f64 v[16:17], v[16:17], v[18:19], v[24:25]
	v_div_fixup_f64 v[16:17], v[16:17], v[10:11], s[40:41]
	v_div_scale_f64 v[18:19], s[40:41], v[31:32], v[31:32], v[29:30]
	v_rcp_f64_e32 v[22:23], v[18:19]
	v_fma_f64 v[24:25], -v[18:19], v[22:23], 1.0
	v_fma_f64 v[22:23], v[22:23], v[24:25], v[22:23]
	v_fma_f64 v[24:25], -v[18:19], v[22:23], 1.0
	v_fma_f64 v[22:23], v[22:23], v[24:25], v[22:23]
	v_div_scale_f64 v[24:25], vcc, v[29:30], v[31:32], v[29:30]
	v_mul_f64 v[35:36], v[24:25], v[22:23]
	v_fma_f64 v[18:19], -v[18:19], v[35:36], v[24:25]
	s_nop 1
	v_div_fmas_f64 v[18:19], v[18:19], v[22:23], v[35:36]
	v_div_fixup_f64 v[18:19], v[18:19], v[31:32], v[29:30]
	v_mul_f64 v[16:17], v[16:17], v[18:19]
	v_mul_f64 v[18:19], v[12:13], v[12:13]
	v_mul_f64 v[22:23], v[18:19], 0.5
	v_fma_f64 v[30:31], v[18:19], s[10:11], v[37:38]
	v_add_f64 v[24:25], -v[22:23], 1.0
	v_fma_f64 v[30:31], v[18:19], v[30:31], s[14:15]
	v_add_f64 v[28:29], -v[24:25], 1.0
	v_fma_f64 v[30:31], v[18:19], v[30:31], s[12:13]
	v_add_f64 v[22:23], v[28:29], -v[22:23]
	v_fma_f64 v[30:31], v[18:19], v[30:31], s[16:17]
	v_mul_f64 v[28:29], v[18:19], v[18:19]
	v_fma_f64 v[22:23], v[12:13], -v[14:15], v[22:23]
	v_fma_f64 v[30:31], v[18:19], v[30:31], s[18:19]
	v_fma_f64 v[22:23], v[28:29], v[30:31], v[22:23]
	v_mul_f64 v[28:29], v[12:13], -v[18:19]
	v_mul_f64 v[30:31], v[14:15], 0.5
	v_add_f64 v[22:23], v[24:25], v[22:23]
	v_fma_f64 v[24:25], v[18:19], s[20:21], v[33:34]
	v_fma_f64 v[24:25], v[18:19], v[24:25], s[28:29]
	;; [unrolled: 1-line block ×5, first 2 shown]
	v_fma_f64 v[14:15], v[18:19], v[24:25], -v[14:15]
	v_fma_f64 v[14:15], v[28:29], s[22:23], v[14:15]
	v_add_f64 v[12:13], v[12:13], -v[14:15]
	v_and_b32_e32 v14, 1, v27
	v_cmp_eq_u32_e32 vcc, 0, v14
	v_lshlrev_b32_e32 v14, 30, v27
	v_and_b32_e32 v14, 0x80000000, v14
	v_xor_b32_e32 v13, 0x80000000, v13
	v_cndmask_b32_e32 v13, v13, v23, vcc
	v_cndmask_b32_e32 v12, v12, v22, vcc
	v_xor_b32_e32 v13, v13, v14
	v_cndmask_b32_e64 v12, 0, v12, s[4:5]
	v_cndmask_b32_e64 v13, v39, v13, s[4:5]
	v_mul_f64 v[12:13], v[16:17], v[12:13]
	s_mov_b32 s4, 0x33d43651
	s_mov_b32 s5, 0x3fe98845
	v_fma_f64 v[8:9], v[20:21], v[8:9], v[12:13]
	v_mov_b32_e32 v12, 0x100
	v_mul_f64 v[8:9], v[8:9], s[4:5]
	s_mov_b32 s4, 0
	s_brev_b32 s5, 8
	v_cmp_gt_f64_e32 vcc, s[4:5], v[10:11]
	v_cndmask_b32_e32 v12, 0, v12, vcc
	v_ldexp_f64 v[10:11], v[10:11], v12
	v_rsq_f64_e32 v[12:13], v[10:11]
	v_mul_f64 v[14:15], v[10:11], v[12:13]
	v_mul_f64 v[12:13], v[12:13], 0.5
	v_fma_f64 v[16:17], -v[12:13], v[14:15], 0.5
	v_fma_f64 v[14:15], v[14:15], v[16:17], v[14:15]
	v_fma_f64 v[12:13], v[12:13], v[16:17], v[12:13]
	v_fma_f64 v[18:19], -v[14:15], v[14:15], v[10:11]
	v_fma_f64 v[14:15], v[18:19], v[12:13], v[14:15]
	v_fma_f64 v[16:17], -v[14:15], v[14:15], v[10:11]
	v_fma_f64 v[12:13], v[16:17], v[12:13], v[14:15]
	v_mov_b32_e32 v14, 0xffffff80
	v_cndmask_b32_e32 v14, 0, v14, vcc
	v_ldexp_f64 v[12:13], v[12:13], v14
	v_mov_b32_e32 v14, 0x260
	v_cmp_class_f64_e32 vcc, v[10:11], v14
	v_cndmask_b32_e32 v11, v13, v11, vcc
	v_cndmask_b32_e32 v10, v12, v10, vcc
	v_div_scale_f64 v[12:13], s[4:5], v[10:11], v[10:11], v[8:9]
	v_rcp_f64_e32 v[14:15], v[12:13]
	v_fma_f64 v[16:17], -v[12:13], v[14:15], 1.0
	v_fma_f64 v[14:15], v[14:15], v[16:17], v[14:15]
	v_fma_f64 v[16:17], -v[12:13], v[14:15], 1.0
	v_fma_f64 v[14:15], v[14:15], v[16:17], v[14:15]
	v_div_scale_f64 v[16:17], vcc, v[8:9], v[10:11], v[8:9]
	v_mul_f64 v[18:19], v[16:17], v[14:15]
	v_fma_f64 v[12:13], -v[12:13], v[18:19], v[16:17]
	s_nop 1
	v_div_fmas_f64 v[12:13], v[12:13], v[14:15], v[18:19]
	v_div_fixup_f64 v[8:9], v[12:13], v[10:11], v[8:9]
.LBB1_40:
	s_or_b64 exec, exec, s[8:9]
	s_mov_b32 s4, 0
	s_mov_b32 s5, 0x40140000
	v_cmp_ge_f64_e32 vcc, s[4:5], v[2:3]
                                        ; implicit-def: $vgpr10_vgpr11
	s_and_saveexec_b64 s[4:5], vcc
	s_xor_b64 s[4:5], exec, s[4:5]
	s_cbranch_execz .LBB1_50
; %bb.41:
	v_cmp_neq_f64_e32 vcc, 0, v[2:3]
	v_mov_b32_e32 v10, 0
	v_mov_b32_e32 v11, 0xfff00000
	s_and_saveexec_b64 s[8:9], vcc
	s_cbranch_execz .LBB1_49
; %bb.42:
	v_cmp_ngt_f64_e32 vcc, 0, v[2:3]
	v_mov_b32_e32 v10, 0
	v_mov_b32_e32 v11, 0x7ff80000
	s_and_saveexec_b64 s[10:11], vcc
	s_cbranch_execz .LBB1_48
; %bb.43:
	v_mul_f64 v[10:11], v[2:3], v[2:3]
	s_mov_b32 s12, 0x88e368f1
	s_mov_b32 s13, 0x3ee4f8b5
	v_cmp_ngt_f64_e32 vcc, s[12:13], v[2:3]
                                        ; implicit-def: $vgpr12_vgpr13
	v_mul_f64 v[14:15], v[10:11], 0
	s_and_saveexec_b64 s[12:13], vcc
	s_xor_b64 s[12:13], exec, s[12:13]
	s_cbranch_execz .LBB1_45
; %bb.44:
	s_mov_b32 s14, 0xa696b78c
	s_mov_b32 s15, 0x407f3902
	v_add_f64 v[12:13], v[14:15], s[14:15]
	s_mov_b32 s14, 0x36a21a67
	s_mov_b32 s15, 0x410536cb
	;; [unrolled: 1-line block ×7, first 2 shown]
	v_fma_f64 v[12:13], v[10:11], v[12:13], s[14:15]
	s_mov_b32 s14, 0x2eac0634
	s_mov_b32 s15, 0x41871934
	;; [unrolled: 1-line block ×3, first 2 shown]
	v_fma_f64 v[12:13], v[10:11], v[12:13], s[14:15]
	s_mov_b32 s14, 0xad1c8325
	s_mov_b32 s15, 0xc1f1dc53
	v_add_f64 v[16:17], v[14:15], s[14:15]
	s_mov_b32 s14, 0xe0d900f7
	s_mov_b32 s15, 0xc2ec5614
	v_fma_f64 v[12:13], v[10:11], v[12:13], s[18:19]
	s_mov_b32 s18, 0x72182e46
	s_mov_b32 s19, 0x427ebeb3
	v_fma_f64 v[16:17], v[10:11], v[16:17], s[16:17]
	s_mov_b32 s16, 0x80462bbb
	s_mov_b32 s17, 0xc01721fb
	v_add_f64 v[18:19], v[10:11], s[16:17]
	s_mov_b32 s16, 0x69ff5fb4
	v_fma_f64 v[12:13], v[10:11], v[12:13], s[18:19]
	s_mov_b32 s18, 0xa621dd6f
	s_mov_b32 s19, 0xc03e78a4
	v_add_f64 v[20:21], v[10:11], s[18:19]
	v_fma_f64 v[16:17], v[10:11], v[16:17], s[14:15]
	s_mov_b32 s14, 0x7e7b2e9c
	s_mov_b32 s15, 0x435c4141
	;; [unrolled: 1-line block ×3, first 2 shown]
	v_fma_f64 v[12:13], v[10:11], v[12:13], s[20:21]
	v_mul_f64 v[18:19], v[18:19], v[20:21]
	v_fma_f64 v[16:17], v[10:11], v[16:17], s[16:17]
	v_fma_f64 v[12:13], v[10:11], v[12:13], s[14:15]
	s_mov_b32 s14, 0xc7b662cc
	s_mov_b32 s15, 0x43b7be34
	v_mul_f64 v[16:17], v[18:19], v[16:17]
	v_fma_f64 v[12:13], v[10:11], v[12:13], s[14:15]
	v_div_scale_f64 v[18:19], s[14:15], v[12:13], v[12:13], v[16:17]
	v_div_scale_f64 v[24:25], vcc, v[16:17], v[12:13], v[16:17]
	v_rcp_f64_e32 v[20:21], v[18:19]
	v_fma_f64 v[22:23], -v[18:19], v[20:21], 1.0
	v_fma_f64 v[20:21], v[20:21], v[22:23], v[20:21]
	v_fma_f64 v[22:23], -v[18:19], v[20:21], 1.0
	v_fma_f64 v[20:21], v[20:21], v[22:23], v[20:21]
	v_mul_f64 v[22:23], v[24:25], v[20:21]
	v_fma_f64 v[18:19], -v[18:19], v[22:23], v[24:25]
	v_div_fmas_f64 v[18:19], v[18:19], v[20:21], v[22:23]
	v_div_fixup_f64 v[12:13], v[18:19], v[12:13], v[16:17]
.LBB1_45:
	s_andn2_saveexec_b64 s[12:13], s[12:13]
	s_cbranch_execz .LBB1_47
; %bb.46:
	s_mov_b32 s14, 0
	s_mov_b32 s15, 0xbfd00000
	v_fma_f64 v[12:13], v[10:11], s[14:15], 1.0
.LBB1_47:
	s_or_b64 exec, exec, s[12:13]
	v_frexp_mant_f64_e32 v[16:17], v[2:3]
	s_mov_b32 s13, 0x3fe55555
	s_mov_b32 s12, 0x55555555
	;; [unrolled: 1-line block ×7, first 2 shown]
	v_cmp_gt_f64_e32 vcc, s[12:13], v[16:17]
	s_mov_b32 s25, 0x3fcc71c0
	s_mov_b32 s16, 0x32e48896
	;; [unrolled: 1-line block ×7, first 2 shown]
	v_cndmask_b32_e64 v18, 0, 1, vcc
	v_ldexp_f64 v[16:17], v[16:17], v18
	s_mov_b32 s23, 0x42d3ea72
	s_mov_b32 s26, 0x660b4003
	;; [unrolled: 1-line block ×3, first 2 shown]
	v_add_f64 v[18:19], v[16:17], 1.0
	v_add_f64 v[24:25], v[16:17], -1.0
	v_rcp_f64_e32 v[20:21], v[18:19]
	v_add_f64 v[27:28], v[18:19], -1.0
	v_add_f64 v[16:17], v[16:17], -v[27:28]
	v_fma_f64 v[22:23], -v[18:19], v[20:21], 1.0
	v_fma_f64 v[20:21], v[22:23], v[20:21], v[20:21]
	v_fma_f64 v[22:23], -v[18:19], v[20:21], 1.0
	v_fma_f64 v[20:21], v[22:23], v[20:21], v[20:21]
	v_mul_f64 v[22:23], v[24:25], v[20:21]
	v_mul_f64 v[29:30], v[18:19], v[22:23]
	v_fma_f64 v[18:19], v[22:23], v[18:19], -v[29:30]
	v_fma_f64 v[16:17], v[22:23], v[16:17], v[18:19]
	v_add_f64 v[18:19], v[29:30], v[16:17]
	v_add_f64 v[27:28], v[24:25], -v[18:19]
	v_add_f64 v[29:30], v[18:19], -v[29:30]
	;; [unrolled: 1-line block ×5, first 2 shown]
	v_mov_b32_e32 v24, 0x6b47b09a
	v_mov_b32_e32 v25, 0x3fc38538
	v_add_f64 v[16:17], v[16:17], v[18:19]
	v_add_f64 v[16:17], v[27:28], v[16:17]
	v_mul_f64 v[16:17], v[20:21], v[16:17]
	v_add_f64 v[18:19], v[22:23], v[16:17]
	v_mul_f64 v[20:21], v[18:19], v[18:19]
	v_fma_f64 v[24:25], v[20:21], s[14:15], v[24:25]
	s_mov_b32 s14, 0xe896898f
	s_mov_b32 s15, 0x40ce7437
	v_add_f64 v[27:28], v[14:15], s[14:15]
	s_mov_b32 s14, 0x9b27acf1
	s_mov_b32 s15, 0x3fd24924
	v_mul_f64 v[29:30], v[18:19], v[20:21]
	v_fma_f64 v[24:25], v[20:21], v[24:25], s[18:19]
	s_mov_b32 s18, 0xf0284cdd
	s_mov_b32 s19, 0x41f43f78
	v_fma_f64 v[27:28], v[10:11], v[27:28], s[16:17]
	s_mov_b32 s16, 0x5164d101
	s_mov_b32 s17, 0x41b00763
	;; [unrolled: 3-line block ×3, first 2 shown]
	v_fma_f64 v[27:28], v[10:11], v[27:28], s[18:19]
	v_fma_f64 v[24:25], v[20:21], v[24:25], s[14:15]
	s_mov_b32 s14, 0x576dfcb6
	s_mov_b32 s15, 0x40904522
	v_add_f64 v[14:15], v[14:15], s[14:15]
	s_mov_b32 s14, 0x998ef7b6
	s_mov_b32 s15, 0x3fd99999
	v_fma_f64 v[24:25], v[20:21], v[24:25], s[14:15]
	s_mov_b32 s14, 0xa907bc0c
	s_mov_b32 s15, 0x41231b76
	v_fma_f64 v[14:15], v[10:11], v[14:15], s[14:15]
	;; [unrolled: 3-line block ×3, first 2 shown]
	v_fma_f64 v[24:25], v[10:11], v[27:28], s[20:21]
	v_ldexp_f64 v[27:28], v[18:19], 1
	v_fma_f64 v[14:15], v[10:11], v[14:15], s[16:17]
	s_mov_b32 s12, 0x2b8664bc
	s_mov_b32 s13, 0x42341ddb
	v_add_f64 v[18:19], v[18:19], -v[22:23]
	s_mov_b32 s16, 0xdfeb596d
	v_mul_f64 v[20:21], v[29:30], v[20:21]
	v_frexp_exp_i32_f64_e32 v29, v[2:3]
	v_fma_f64 v[24:25], v[10:11], v[24:25], s[22:23]
	v_fma_f64 v[14:15], v[10:11], v[14:15], s[12:13]
	s_mov_b32 s12, 0xfefa39ef
	s_mov_b32 s13, 0x3fe62e42
	v_add_f64 v[16:17], v[16:17], -v[18:19]
	s_mov_b32 s17, 0x43268910
	v_add_f64 v[22:23], v[27:28], v[20:21]
	v_subbrev_co_u32_e32 v29, vcc, 0, v29, vcc
	v_cvt_f64_i32_e32 v[29:30], v29
	v_fma_f64 v[14:15], v[10:11], v[14:15], s[14:15]
	v_fma_f64 v[24:25], v[10:11], v[24:25], s[24:25]
	v_ldexp_f64 v[16:17], v[16:17], 1
	v_mul_f64 v[31:32], v[29:30], s[12:13]
	v_add_f64 v[18:19], v[22:23], -v[27:28]
	s_mov_b32 s14, 0xbcf9b5d0
	s_mov_b32 s15, 0x438bd25f
	v_fma_f64 v[14:15], v[10:11], v[14:15], s[16:17]
	v_fma_f64 v[24:25], v[10:11], v[24:25], s[26:27]
	v_fma_f64 v[27:28], v[29:30], s[12:13], -v[31:32]
	v_add_f64 v[18:19], v[20:21], -v[18:19]
	s_mov_b32 s12, 0x5906367b
	s_mov_b32 s13, 0xc3506d4b
	v_fma_f64 v[14:15], v[10:11], v[14:15], s[14:15]
	v_fma_f64 v[10:11], v[10:11], v[24:25], s[12:13]
	s_mov_b32 s12, 0x3b39803f
	s_mov_b32 s13, 0x3c7abc9e
	v_fma_f64 v[20:21], v[29:30], s[12:13], v[27:28]
	v_add_f64 v[16:17], v[16:17], v[18:19]
	v_div_scale_f64 v[18:19], s[12:13], v[14:15], v[14:15], v[10:11]
	s_mov_b32 s12, 0x6dc9c883
	v_add_f64 v[24:25], v[31:32], v[20:21]
	v_add_f64 v[27:28], v[22:23], v[16:17]
	s_mov_b32 s13, 0x3fe45f30
	v_add_f64 v[31:32], v[24:25], -v[31:32]
	v_add_f64 v[29:30], v[24:25], v[27:28]
	v_add_f64 v[22:23], v[27:28], -v[22:23]
	v_rcp_f64_e32 v[33:34], v[18:19]
	v_add_f64 v[20:21], v[20:21], -v[31:32]
	v_add_f64 v[35:36], v[29:30], -v[24:25]
	;; [unrolled: 1-line block ×4, first 2 shown]
	v_add_f64 v[31:32], v[20:21], v[16:17]
	v_fma_f64 v[48:49], -v[18:19], v[33:34], 1.0
	v_add_f64 v[22:23], v[24:25], -v[37:38]
	v_add_f64 v[24:25], v[27:28], -v[35:36]
	;; [unrolled: 1-line block ×3, first 2 shown]
	v_fma_f64 v[27:28], v[33:34], v[48:49], v[33:34]
	v_div_scale_f64 v[33:34], vcc, v[10:11], v[14:15], v[10:11]
	v_add_f64 v[22:23], v[24:25], v[22:23]
	v_add_f64 v[16:17], v[16:17], -v[35:36]
	v_fma_f64 v[24:25], -v[18:19], v[27:28], 1.0
	v_add_f64 v[22:23], v[31:32], v[22:23]
	v_fma_f64 v[24:25], v[27:28], v[24:25], v[27:28]
	v_add_f64 v[27:28], v[31:32], -v[35:36]
	v_add_f64 v[31:32], v[29:30], v[22:23]
	v_mul_f64 v[37:38], v[33:34], v[24:25]
	v_add_f64 v[20:21], v[20:21], -v[27:28]
	v_add_f64 v[27:28], v[31:32], -v[29:30]
	v_fma_f64 v[18:19], -v[18:19], v[37:38], v[33:34]
	v_add_f64 v[16:17], v[16:17], v[20:21]
	v_add_f64 v[20:21], v[22:23], -v[27:28]
	v_div_fmas_f64 v[18:19], v[18:19], v[24:25], v[37:38]
	v_add_f64 v[16:17], v[16:17], v[20:21]
	v_add_f64 v[16:17], v[31:32], v[16:17]
	v_div_fixup_f64 v[10:11], v[18:19], v[14:15], v[10:11]
	v_mul_f64 v[14:15], v[16:17], s[12:13]
	v_fma_f64 v[10:11], v[14:15], v[12:13], v[10:11]
.LBB1_48:
	s_or_b64 exec, exec, s[10:11]
.LBB1_49:
	s_or_b64 exec, exec, s[8:9]
.LBB1_50:
	s_andn2_saveexec_b64 s[8:9], s[4:5]
	s_cbranch_execz .LBB1_60
; %bb.51:
	s_mov_b32 s13, 0xbfe921fb
	s_mov_b32 s12, 0x54442d18
	v_add_f64 v[10:11], v[2:3], s[12:13]
	s_mov_b32 s4, 0
	s_mov_b32 s5, 0x41d00000
                                        ; implicit-def: $vgpr28
                                        ; implicit-def: $vgpr16_vgpr17
                                        ; implicit-def: $vgpr18_vgpr19
	v_trig_preop_f64 v[24:25], |v[10:11]|, 0
	v_trig_preop_f64 v[22:23], |v[10:11]|, 1
	v_trig_preop_f64 v[20:21], |v[10:11]|, 2
	v_cmp_nlt_f64_e64 s[10:11], |v[10:11]|, s[4:5]
	s_and_saveexec_b64 s[4:5], s[10:11]
	s_xor_b64 s[14:15], exec, s[4:5]
	s_cbranch_execz .LBB1_53
; %bb.52:
	s_mov_b32 s4, 0
	s_mov_b32 s5, 0x7b000000
	v_cmp_ge_f64_e64 vcc, |v[10:11]|, s[4:5]
	s_movk_i32 s4, 0xff80
	v_ldexp_f64 v[12:13], |v[10:11]|, s4
	v_and_b32_e32 v14, 0x7fffffff, v11
	s_mov_b32 s4, 0
	s_mov_b32 s5, 0x7ff00000
	;; [unrolled: 1-line block ×3, first 2 shown]
	v_cndmask_b32_e32 v13, v14, v13, vcc
	v_cndmask_b32_e32 v12, v10, v12, vcc
	v_mul_f64 v[16:17], v[24:25], v[12:13]
	v_mul_f64 v[14:15], v[22:23], v[12:13]
	v_fma_f64 v[18:19], v[24:25], v[12:13], -v[16:17]
	v_add_f64 v[27:28], v[14:15], v[18:19]
	v_add_f64 v[35:36], v[27:28], -v[14:15]
	v_add_f64 v[29:30], v[16:17], v[27:28]
	v_add_f64 v[18:19], v[18:19], -v[35:36]
	v_add_f64 v[35:36], v[27:28], -v[35:36]
	v_ldexp_f64 v[31:32], v[29:30], -2
	v_add_f64 v[16:17], v[29:30], -v[16:17]
	v_add_f64 v[35:36], v[14:15], -v[35:36]
	v_fma_f64 v[14:15], v[22:23], v[12:13], -v[14:15]
	v_add_f64 v[16:17], v[27:28], -v[16:17]
	v_fract_f64_e32 v[33:34], v[31:32]
	v_cmp_neq_f64_e64 vcc, |v[31:32]|, s[4:5]
	v_add_f64 v[18:19], v[18:19], v[35:36]
	v_mul_f64 v[35:36], v[20:21], v[12:13]
	v_add_f64 v[37:38], v[35:36], v[14:15]
	v_fma_f64 v[12:13], v[20:21], v[12:13], -v[35:36]
	v_add_f64 v[48:49], v[37:38], v[18:19]
	v_add_f64 v[29:30], v[48:49], -v[37:38]
	v_add_f64 v[27:28], v[16:17], v[48:49]
	v_add_f64 v[18:19], v[18:19], -v[29:30]
	v_add_f64 v[29:30], v[48:49], -v[29:30]
	;; [unrolled: 1-line block ×5, first 2 shown]
	v_add_f64 v[18:19], v[18:19], v[29:30]
	v_add_f64 v[29:30], v[37:38], -v[35:36]
	v_add_f64 v[14:15], v[14:15], -v[29:30]
	;; [unrolled: 1-line block ×4, first 2 shown]
	v_add_f64 v[14:15], v[14:15], v[29:30]
	v_add_f64 v[14:15], v[14:15], v[18:19]
	;; [unrolled: 1-line block ×3, first 2 shown]
	v_ldexp_f64 v[14:15], v[33:34], 2
	v_add_f64 v[12:13], v[16:17], v[12:13]
	v_cndmask_b32_e32 v15, 0, v15, vcc
	v_cndmask_b32_e32 v14, 0, v14, vcc
	v_add_f64 v[16:17], v[27:28], v[14:15]
	v_cmp_gt_f64_e32 vcc, 0, v[16:17]
	v_mov_b32_e32 v16, 0x40100000
	v_cndmask_b32_e32 v17, 0, v16, vcc
	v_mov_b32_e32 v16, 0
	v_add_f64 v[14:15], v[14:15], v[16:17]
	v_add_f64 v[17:18], v[27:28], v[14:15]
	v_cvt_i32_f64_e32 v29, v[17:18]
	v_cvt_f64_i32_e32 v[17:18], v29
	v_add_f64 v[14:15], v[14:15], -v[17:18]
	v_add_f64 v[18:19], v[27:28], v[14:15]
	v_add_f64 v[14:15], v[18:19], -v[14:15]
	v_cmp_le_f64_e32 vcc, 0.5, v[18:19]
	v_add_f64 v[14:15], v[27:28], -v[14:15]
	v_addc_co_u32_e64 v28, s[4:5], 0, v29, vcc
	s_mov_b32 s4, 0x33145c07
	s_mov_b32 s5, 0x3c91a626
	v_add_f64 v[12:13], v[12:13], v[14:15]
	v_mov_b32_e32 v14, 0x3ff00000
	v_cndmask_b32_e32 v17, 0, v14, vcc
	v_add_f64 v[14:15], v[18:19], -v[16:17]
	v_add_f64 v[16:17], v[14:15], v[12:13]
	v_add_f64 v[14:15], v[16:17], -v[14:15]
	v_add_f64 v[12:13], v[12:13], -v[14:15]
	v_mul_f64 v[14:15], v[16:17], s[12:13]
	v_fma_f64 v[18:19], v[16:17], s[12:13], -v[14:15]
	v_fma_f64 v[16:17], v[16:17], s[4:5], v[18:19]
	v_fma_f64 v[12:13], v[12:13], s[12:13], v[16:17]
	v_add_f64 v[16:17], v[14:15], v[12:13]
	v_add_f64 v[14:15], v[16:17], -v[14:15]
	v_add_f64 v[18:19], v[12:13], -v[14:15]
	s_andn2_saveexec_b64 s[4:5], s[14:15]
	s_cbranch_execz .LBB1_55
	s_branch .LBB1_54
.LBB1_53:
	s_andn2_saveexec_b64 s[4:5], s[14:15]
	s_cbranch_execz .LBB1_55
.LBB1_54:
	s_mov_b32 s12, 0x6dc9c883
	s_mov_b32 s13, 0x3fe45f30
	v_mul_f64 v[12:13], |v[10:11]|, s[12:13]
	s_mov_b32 s12, 0x54442d18
	s_mov_b32 s13, 0xbff921fb
	;; [unrolled: 1-line block ×4, first 2 shown]
	v_rndne_f64_e32 v[12:13], v[12:13]
	v_fma_f64 v[14:15], v[12:13], s[12:13], |v[10:11]|
	v_mul_f64 v[16:17], v[12:13], s[14:15]
	s_mov_b32 s12, 0x252049c0
	s_mov_b32 s13, 0xb97b839a
	v_add_f64 v[18:19], v[14:15], v[16:17]
	v_add_f64 v[27:28], v[14:15], -v[18:19]
	v_fma_f64 v[14:15], v[12:13], s[14:15], v[14:15]
	s_mov_b32 s15, 0x3c91a626
	v_add_f64 v[27:28], v[27:28], v[16:17]
	v_add_f64 v[18:19], v[18:19], -v[14:15]
	v_fma_f64 v[16:17], v[12:13], s[14:15], v[16:17]
	v_add_f64 v[18:19], v[18:19], v[27:28]
	v_cvt_i32_f64_e32 v28, v[12:13]
	v_add_f64 v[16:17], v[18:19], -v[16:17]
	v_fma_f64 v[18:19], v[12:13], s[12:13], v[16:17]
	v_add_f64 v[16:17], v[14:15], v[18:19]
	v_add_f64 v[14:15], v[16:17], -v[14:15]
	v_add_f64 v[18:19], v[18:19], -v[14:15]
.LBB1_55:
	s_or_b64 exec, exec, s[4:5]
                                        ; implicit-def: $vgpr27
                                        ; implicit-def: $vgpr12_vgpr13
                                        ; implicit-def: $vgpr14_vgpr15
	s_and_saveexec_b64 s[4:5], s[10:11]
	s_xor_b64 s[10:11], exec, s[4:5]
	s_cbranch_execz .LBB1_57
; %bb.56:
	s_mov_b32 s4, 0
	s_mov_b32 s5, 0x7b000000
	v_cmp_ge_f64_e64 vcc, |v[10:11]|, s[4:5]
	s_movk_i32 s4, 0xff80
	v_ldexp_f64 v[12:13], |v[10:11]|, s4
	v_and_b32_e32 v14, 0x7fffffff, v11
	s_mov_b32 s4, 0
	s_mov_b32 s5, 0x7ff00000
	;; [unrolled: 1-line block ×4, first 2 shown]
	v_cndmask_b32_e32 v13, v14, v13, vcc
	v_cndmask_b32_e32 v12, v10, v12, vcc
	v_mul_f64 v[29:30], v[24:25], v[12:13]
	v_mul_f64 v[14:15], v[22:23], v[12:13]
	v_fma_f64 v[24:25], v[24:25], v[12:13], -v[29:30]
	v_add_f64 v[31:32], v[14:15], v[24:25]
	v_add_f64 v[48:49], v[31:32], -v[14:15]
	v_add_f64 v[33:34], v[29:30], v[31:32]
	v_add_f64 v[24:25], v[24:25], -v[48:49]
	v_add_f64 v[48:49], v[31:32], -v[48:49]
	v_ldexp_f64 v[35:36], v[33:34], -2
	v_add_f64 v[29:30], v[33:34], -v[29:30]
	v_add_f64 v[48:49], v[14:15], -v[48:49]
	v_fma_f64 v[14:15], v[22:23], v[12:13], -v[14:15]
	v_mul_f64 v[22:23], v[20:21], v[12:13]
	v_fract_f64_e32 v[37:38], v[35:36]
	v_add_f64 v[29:30], v[31:32], -v[29:30]
	v_cmp_neq_f64_e64 vcc, |v[35:36]|, s[4:5]
	v_add_f64 v[24:25], v[24:25], v[48:49]
	v_add_f64 v[48:49], v[22:23], v[14:15]
	v_fma_f64 v[12:13], v[20:21], v[12:13], -v[22:23]
	v_add_f64 v[50:51], v[48:49], v[24:25]
	v_add_f64 v[33:34], v[50:51], -v[48:49]
	v_add_f64 v[31:32], v[29:30], v[50:51]
	v_add_f64 v[24:25], v[24:25], -v[33:34]
	v_add_f64 v[33:34], v[50:51], -v[33:34]
	;; [unrolled: 1-line block ×5, first 2 shown]
	v_add_f64 v[24:25], v[24:25], v[33:34]
	v_add_f64 v[33:34], v[48:49], -v[22:23]
	v_add_f64 v[14:15], v[14:15], -v[33:34]
	;; [unrolled: 1-line block ×4, first 2 shown]
	v_add_f64 v[14:15], v[14:15], v[33:34]
	v_add_f64 v[14:15], v[14:15], v[24:25]
	;; [unrolled: 1-line block ×3, first 2 shown]
	v_ldexp_f64 v[14:15], v[37:38], 2
	v_add_f64 v[12:13], v[29:30], v[12:13]
	v_cndmask_b32_e32 v15, 0, v15, vcc
	v_cndmask_b32_e32 v14, 0, v14, vcc
	v_add_f64 v[20:21], v[31:32], v[14:15]
	v_cmp_gt_f64_e32 vcc, 0, v[20:21]
	v_mov_b32_e32 v20, 0x40100000
	v_cndmask_b32_e32 v21, 0, v20, vcc
	v_mov_b32_e32 v20, 0
	v_add_f64 v[14:15], v[14:15], v[20:21]
	v_add_f64 v[21:22], v[31:32], v[14:15]
	v_cvt_i32_f64_e32 v24, v[21:22]
	v_cvt_f64_i32_e32 v[21:22], v24
	v_add_f64 v[14:15], v[14:15], -v[21:22]
	v_add_f64 v[22:23], v[31:32], v[14:15]
	v_add_f64 v[14:15], v[22:23], -v[14:15]
	v_cmp_le_f64_e32 vcc, 0.5, v[22:23]
	v_add_f64 v[14:15], v[31:32], -v[14:15]
	v_addc_co_u32_e64 v27, s[4:5], 0, v24, vcc
	s_mov_b32 s4, 0x54442d18
	s_mov_b32 s5, 0x3ff921fb
	v_add_f64 v[12:13], v[12:13], v[14:15]
	v_mov_b32_e32 v14, 0x3ff00000
	v_cndmask_b32_e32 v21, 0, v14, vcc
	v_add_f64 v[14:15], v[22:23], -v[20:21]
	v_add_f64 v[20:21], v[14:15], v[12:13]
	v_add_f64 v[14:15], v[20:21], -v[14:15]
	v_add_f64 v[12:13], v[12:13], -v[14:15]
	v_mul_f64 v[14:15], v[20:21], s[4:5]
	v_fma_f64 v[22:23], v[20:21], s[4:5], -v[14:15]
	v_fma_f64 v[20:21], v[20:21], s[12:13], v[22:23]
	v_fma_f64 v[20:21], v[12:13], s[4:5], v[20:21]
	v_add_f64 v[12:13], v[14:15], v[20:21]
	v_add_f64 v[14:15], v[12:13], -v[14:15]
	v_add_f64 v[14:15], v[20:21], -v[14:15]
	s_andn2_saveexec_b64 s[4:5], s[10:11]
	s_cbranch_execnz .LBB1_58
	s_branch .LBB1_59
.LBB1_57:
	s_andn2_saveexec_b64 s[4:5], s[10:11]
	s_cbranch_execz .LBB1_59
.LBB1_58:
	s_mov_b32 s10, 0x6dc9c883
	s_mov_b32 s11, 0x3fe45f30
	v_mul_f64 v[12:13], |v[10:11]|, s[10:11]
	s_mov_b32 s10, 0x54442d18
	s_mov_b32 s11, 0xbff921fb
	;; [unrolled: 1-line block ×4, first 2 shown]
	v_rndne_f64_e32 v[20:21], v[12:13]
	v_fma_f64 v[12:13], v[20:21], s[10:11], |v[10:11]|
	v_mul_f64 v[14:15], v[20:21], s[12:13]
	s_mov_b32 s10, 0x252049c0
	s_mov_b32 s11, 0xb97b839a
	v_cvt_i32_f64_e32 v27, v[20:21]
	v_fma_f64 v[29:30], v[20:21], s[12:13], v[12:13]
	v_add_f64 v[22:23], v[12:13], v[14:15]
	s_mov_b32 s13, 0x3c91a626
	v_add_f64 v[24:25], v[12:13], -v[22:23]
	v_add_f64 v[22:23], v[22:23], -v[29:30]
	v_add_f64 v[12:13], v[24:25], v[14:15]
	v_fma_f64 v[14:15], v[20:21], s[12:13], v[14:15]
	v_add_f64 v[12:13], v[22:23], v[12:13]
	v_add_f64 v[12:13], v[12:13], -v[14:15]
	v_fma_f64 v[14:15], v[20:21], s[10:11], v[12:13]
	v_add_f64 v[12:13], v[29:30], v[14:15]
	v_add_f64 v[22:23], v[12:13], -v[29:30]
	v_add_f64 v[14:15], v[14:15], -v[22:23]
.LBB1_59:
	s_or_b64 exec, exec, s[4:5]
	v_mul_f64 v[20:21], v[2:3], v[2:3]
	s_mov_b32 s4, 0
	s_mov_b32 s5, 0x40390000
	;; [unrolled: 1-line block ×7, first 2 shown]
	v_div_scale_f64 v[22:23], s[10:11], v[20:21], v[20:21], s[4:5]
	s_mov_b32 s10, 0x46cc5e42
	s_mov_b32 s11, 0xbda907db
	s_mov_b32 s17, 0xbf56c16c
	s_mov_b32 s18, 0x55555555
	s_mov_b32 s19, 0x3fa55555
	s_mov_b32 s20, 0xf9a43bb8
	s_mov_b32 s21, 0x3de5e0b2
	s_mov_b32 s28, 0x796cde01
	s_mov_b32 s29, 0x3ec71de3
	s_mov_b32 s24, 0x19e83e5c
	s_mov_b32 s25, 0xbf2a01a0
	s_mov_b32 s26, 0x11110bb3
	s_mov_b32 s27, 0x3f811111
	v_mul_f64 v[50:51], v[18:19], 0.5
	v_rcp_f64_e32 v[24:25], v[22:23]
	s_mov_b32 s23, 0xbfc55555
	s_mov_b32 s22, s18
	s_mov_b32 s40, 0
	v_mov_b32_e32 v39, 0x7ff80000
	s_mov_b32 s41, 0x40140000
	v_fma_f64 v[29:30], -v[22:23], v[24:25], 1.0
	v_fma_f64 v[24:25], v[24:25], v[29:30], v[24:25]
	v_fma_f64 v[29:30], -v[22:23], v[24:25], 1.0
	v_fma_f64 v[24:25], v[24:25], v[29:30], v[24:25]
	v_div_scale_f64 v[29:30], vcc, s[4:5], v[20:21], s[4:5]
	v_mul_f64 v[31:32], v[29:30], v[24:25]
	v_fma_f64 v[22:23], -v[22:23], v[31:32], v[29:30]
	v_mov_b32_e32 v29, 0x38a5384a
	v_mov_b32_e32 v30, 0xbf874742
	v_div_fmas_f64 v[22:23], v[22:23], v[24:25], v[31:32]
	v_mov_b32_e32 v24, 0xce039737
	v_mov_b32_e32 v25, 0x3f4e4a80
	;; [unrolled: 1-line block ×4, first 2 shown]
	v_div_fixup_f64 v[20:21], v[22:23], v[20:21], s[4:5]
	v_mov_b32_e32 v22, 0x983b6b27
	v_mov_b32_e32 v23, 0x3f4a1d30
	s_mov_b32 s4, 0xb35dd1cf
	s_mov_b32 s5, 0x3fb534b0
	v_fma_f64 v[22:23], v[20:21], 0, v[22:23]
	v_fma_f64 v[24:25], v[20:21], 0, v[24:25]
	;; [unrolled: 1-line block ×5, first 2 shown]
	s_mov_b32 s4, 0x4e680b98
	s_mov_b32 s5, 0x3ff3d521
	v_fma_f64 v[22:23], v[20:21], v[22:23], s[4:5]
	s_mov_b32 s4, 0xe97a0956
	s_mov_b32 s5, 0x4015c9fb
	v_fma_f64 v[22:23], v[20:21], v[22:23], s[4:5]
	;; [unrolled: 3-line block ×10, first 2 shown]
	s_mov_b32 s4, 0xf50e2c0c
	s_mov_b32 s5, 0xc0338dcf
	v_fma_f64 v[24:25], v[20:21], v[24:25], 1.0
	v_fma_f64 v[29:30], v[20:21], v[29:30], s[4:5]
	s_mov_b32 s4, 0x5a6de8c4
	s_mov_b32 s5, 0xc0574d2f
	v_fma_f64 v[29:30], v[20:21], v[29:30], s[4:5]
	s_mov_b32 s4, 0x20cae8ea
	s_mov_b32 s5, 0xc06635cc
	;; [unrolled: 3-line block ×11, first 2 shown]
	v_fma_f64 v[31:32], v[20:21], v[31:32], s[4:5]
	v_fma_f64 v[20:21], v[20:21], v[22:23], 1.0
	v_div_scale_f64 v[22:23], s[4:5], v[24:25], v[24:25], v[20:21]
	s_mov_b32 s4, 0x9037ab78
	s_mov_b32 s5, 0x3e21eeb6
	v_rcp_f64_e32 v[33:34], v[22:23]
	v_fma_f64 v[35:36], -v[22:23], v[33:34], 1.0
	v_fma_f64 v[33:34], v[33:34], v[35:36], v[33:34]
	v_fma_f64 v[35:36], -v[22:23], v[33:34], 1.0
	v_fma_f64 v[33:34], v[33:34], v[35:36], v[33:34]
	v_div_scale_f64 v[35:36], vcc, v[20:21], v[24:25], v[20:21]
	v_mul_f64 v[37:38], v[35:36], v[33:34]
	v_fma_f64 v[22:23], -v[22:23], v[37:38], v[35:36]
	s_nop 1
	v_div_fmas_f64 v[22:23], v[22:23], v[33:34], v[37:38]
	v_mov_b32_e32 v38, s5
	v_mov_b32_e32 v37, s4
	s_mov_b32 s4, 0xb42fdfa7
	s_mov_b32 s5, 0xbe5ae600
	v_div_fixup_f64 v[20:21], v[22:23], v[24:25], v[20:21]
	v_mul_f64 v[22:23], v[16:17], v[16:17]
	v_mul_f64 v[24:25], v[22:23], 0.5
	v_fma_f64 v[48:49], v[22:23], s[10:11], v[37:38]
	v_add_f64 v[33:34], -v[24:25], 1.0
	v_fma_f64 v[48:49], v[22:23], v[48:49], s[14:15]
	v_add_f64 v[35:36], -v[33:34], 1.0
	v_fma_f64 v[48:49], v[22:23], v[48:49], s[12:13]
	v_add_f64 v[24:25], v[35:36], -v[24:25]
	v_fma_f64 v[48:49], v[22:23], v[48:49], s[16:17]
	v_mul_f64 v[35:36], v[22:23], v[22:23]
	v_fma_f64 v[24:25], v[16:17], -v[18:19], v[24:25]
	v_fma_f64 v[48:49], v[22:23], v[48:49], s[18:19]
	v_fma_f64 v[24:25], v[35:36], v[48:49], v[24:25]
	v_mul_f64 v[48:49], v[16:17], -v[22:23]
	v_add_f64 v[24:25], v[33:34], v[24:25]
	v_mov_b32_e32 v34, s5
	v_mov_b32_e32 v33, s4
	v_fma_f64 v[35:36], v[22:23], s[20:21], v[33:34]
	s_movk_i32 s4, 0x1f8
	v_cmp_class_f64_e64 s[4:5], v[10:11], s4
	v_fma_f64 v[35:36], v[22:23], v[35:36], s[28:29]
	v_fma_f64 v[35:36], v[22:23], v[35:36], s[24:25]
	;; [unrolled: 1-line block ×4, first 2 shown]
	v_fma_f64 v[18:19], v[22:23], v[35:36], -v[18:19]
	v_fma_f64 v[18:19], v[48:49], s[22:23], v[18:19]
	v_add_f64 v[16:17], v[16:17], -v[18:19]
	v_and_b32_e32 v18, 1, v28
	v_cmp_eq_u32_e32 vcc, 0, v18
	v_lshlrev_b32_e32 v18, 30, v28
	v_xor_b32_e32 v18, v18, v11
	v_and_b32_e32 v18, 0x80000000, v18
	v_cndmask_b32_e32 v17, v25, v17, vcc
	v_cndmask_b32_e32 v16, v24, v16, vcc
	v_xor_b32_e32 v17, v17, v18
	v_cndmask_b32_e64 v10, 0, v16, s[4:5]
	v_cndmask_b32_e64 v11, v39, v17, s[4:5]
	v_div_scale_f64 v[16:17], s[42:43], v[2:3], v[2:3], s[40:41]
	v_rcp_f64_e32 v[18:19], v[16:17]
	v_fma_f64 v[22:23], -v[16:17], v[18:19], 1.0
	v_fma_f64 v[18:19], v[18:19], v[22:23], v[18:19]
	v_fma_f64 v[22:23], -v[16:17], v[18:19], 1.0
	v_fma_f64 v[18:19], v[18:19], v[22:23], v[18:19]
	v_div_scale_f64 v[22:23], vcc, s[40:41], v[2:3], s[40:41]
	v_mul_f64 v[24:25], v[22:23], v[18:19]
	v_fma_f64 v[16:17], -v[16:17], v[24:25], v[22:23]
	s_nop 1
	v_div_fmas_f64 v[16:17], v[16:17], v[18:19], v[24:25]
	v_div_fixup_f64 v[16:17], v[16:17], v[2:3], s[40:41]
	v_div_scale_f64 v[18:19], s[40:41], v[31:32], v[31:32], v[29:30]
	v_rcp_f64_e32 v[22:23], v[18:19]
	v_fma_f64 v[24:25], -v[18:19], v[22:23], 1.0
	v_fma_f64 v[22:23], v[22:23], v[24:25], v[22:23]
	v_fma_f64 v[24:25], -v[18:19], v[22:23], 1.0
	v_fma_f64 v[22:23], v[22:23], v[24:25], v[22:23]
	v_div_scale_f64 v[24:25], vcc, v[29:30], v[31:32], v[29:30]
	v_mul_f64 v[35:36], v[24:25], v[22:23]
	v_fma_f64 v[18:19], -v[18:19], v[35:36], v[24:25]
	s_nop 1
	v_div_fmas_f64 v[18:19], v[18:19], v[22:23], v[35:36]
	v_div_fixup_f64 v[18:19], v[18:19], v[31:32], v[29:30]
	v_mul_f64 v[16:17], v[16:17], v[18:19]
	v_mul_f64 v[18:19], v[12:13], v[12:13]
	v_mul_f64 v[22:23], v[18:19], 0.5
	v_fma_f64 v[30:31], v[18:19], s[10:11], v[37:38]
	v_add_f64 v[24:25], -v[22:23], 1.0
	v_fma_f64 v[30:31], v[18:19], v[30:31], s[14:15]
	v_add_f64 v[28:29], -v[24:25], 1.0
	v_fma_f64 v[30:31], v[18:19], v[30:31], s[12:13]
	v_add_f64 v[22:23], v[28:29], -v[22:23]
	v_fma_f64 v[30:31], v[18:19], v[30:31], s[16:17]
	v_mul_f64 v[28:29], v[18:19], v[18:19]
	v_fma_f64 v[22:23], v[12:13], -v[14:15], v[22:23]
	v_fma_f64 v[30:31], v[18:19], v[30:31], s[18:19]
	v_fma_f64 v[22:23], v[28:29], v[30:31], v[22:23]
	v_mul_f64 v[28:29], v[12:13], -v[18:19]
	v_mul_f64 v[30:31], v[14:15], 0.5
	v_add_f64 v[22:23], v[24:25], v[22:23]
	v_fma_f64 v[24:25], v[18:19], s[20:21], v[33:34]
	v_fma_f64 v[24:25], v[18:19], v[24:25], s[28:29]
	;; [unrolled: 1-line block ×5, first 2 shown]
	v_fma_f64 v[14:15], v[18:19], v[24:25], -v[14:15]
	v_fma_f64 v[14:15], v[28:29], s[22:23], v[14:15]
	v_add_f64 v[12:13], v[12:13], -v[14:15]
	v_and_b32_e32 v14, 1, v27
	v_cmp_eq_u32_e32 vcc, 0, v14
	v_lshlrev_b32_e32 v14, 30, v27
	v_and_b32_e32 v14, 0x80000000, v14
	v_xor_b32_e32 v13, 0x80000000, v13
	v_cndmask_b32_e32 v13, v13, v23, vcc
	v_cndmask_b32_e32 v12, v12, v22, vcc
	v_xor_b32_e32 v13, v13, v14
	v_cndmask_b32_e64 v12, 0, v12, s[4:5]
	v_cndmask_b32_e64 v13, v39, v13, s[4:5]
	v_mul_f64 v[12:13], v[16:17], v[12:13]
	s_mov_b32 s4, 0x33d43651
	s_mov_b32 s5, 0x3fe98845
	v_fma_f64 v[10:11], v[20:21], v[10:11], v[12:13]
	v_mov_b32_e32 v12, 0x100
	v_mul_f64 v[10:11], v[10:11], s[4:5]
	s_mov_b32 s4, 0
	s_brev_b32 s5, 8
	v_cmp_gt_f64_e32 vcc, s[4:5], v[2:3]
	v_cndmask_b32_e32 v12, 0, v12, vcc
	v_ldexp_f64 v[2:3], v[2:3], v12
	v_rsq_f64_e32 v[12:13], v[2:3]
	v_mul_f64 v[14:15], v[2:3], v[12:13]
	v_mul_f64 v[12:13], v[12:13], 0.5
	v_fma_f64 v[16:17], -v[12:13], v[14:15], 0.5
	v_fma_f64 v[14:15], v[14:15], v[16:17], v[14:15]
	v_fma_f64 v[12:13], v[12:13], v[16:17], v[12:13]
	v_fma_f64 v[18:19], -v[14:15], v[14:15], v[2:3]
	v_fma_f64 v[14:15], v[18:19], v[12:13], v[14:15]
	v_fma_f64 v[16:17], -v[14:15], v[14:15], v[2:3]
	v_fma_f64 v[12:13], v[16:17], v[12:13], v[14:15]
	v_mov_b32_e32 v14, 0xffffff80
	v_cndmask_b32_e32 v14, 0, v14, vcc
	v_ldexp_f64 v[12:13], v[12:13], v14
	v_mov_b32_e32 v14, 0x260
	v_cmp_class_f64_e32 vcc, v[2:3], v14
	v_cndmask_b32_e32 v3, v13, v3, vcc
	v_cndmask_b32_e32 v2, v12, v2, vcc
	v_div_scale_f64 v[12:13], s[4:5], v[2:3], v[2:3], v[10:11]
	v_rcp_f64_e32 v[14:15], v[12:13]
	v_fma_f64 v[16:17], -v[12:13], v[14:15], 1.0
	v_fma_f64 v[14:15], v[14:15], v[16:17], v[14:15]
	v_fma_f64 v[16:17], -v[12:13], v[14:15], 1.0
	v_fma_f64 v[14:15], v[14:15], v[16:17], v[14:15]
	v_div_scale_f64 v[16:17], vcc, v[10:11], v[2:3], v[10:11]
	v_mul_f64 v[18:19], v[16:17], v[14:15]
	v_fma_f64 v[12:13], -v[12:13], v[18:19], v[16:17]
	s_nop 1
	v_div_fmas_f64 v[12:13], v[12:13], v[14:15], v[18:19]
	v_div_fixup_f64 v[10:11], v[12:13], v[2:3], v[10:11]
.LBB1_60:
	s_or_b64 exec, exec, s[8:9]
	s_mov_b32 s4, 0
	s_mov_b32 s5, 0x40140000
	v_cmp_ge_f64_e32 vcc, s[4:5], v[4:5]
	s_and_saveexec_b64 s[4:5], vcc
	s_xor_b64 s[4:5], exec, s[4:5]
	s_cbranch_execz .LBB1_70
; %bb.61:
	v_cmp_neq_f64_e32 vcc, 0, v[4:5]
	v_mov_b32_e32 v12, 0
	v_mov_b32_e32 v13, 0xfff00000
	s_and_saveexec_b64 s[8:9], vcc
	s_cbranch_execz .LBB1_69
; %bb.62:
	v_cmp_ngt_f64_e32 vcc, 0, v[4:5]
	v_mov_b32_e32 v12, 0
	v_mov_b32_e32 v13, 0x7ff80000
	s_and_saveexec_b64 s[10:11], vcc
	s_cbranch_execz .LBB1_68
; %bb.63:
	v_mul_f64 v[2:3], v[4:5], v[4:5]
	s_mov_b32 s12, 0x88e368f1
	s_mov_b32 s13, 0x3ee4f8b5
	v_cmp_ngt_f64_e32 vcc, s[12:13], v[4:5]
                                        ; implicit-def: $vgpr12_vgpr13
	v_mul_f64 v[14:15], v[2:3], 0
	s_and_saveexec_b64 s[12:13], vcc
	s_xor_b64 s[12:13], exec, s[12:13]
	s_cbranch_execz .LBB1_65
; %bb.64:
	s_mov_b32 s14, 0xa696b78c
	s_mov_b32 s15, 0x407f3902
	v_add_f64 v[12:13], v[14:15], s[14:15]
	s_mov_b32 s14, 0x36a21a67
	s_mov_b32 s15, 0x410536cb
	;; [unrolled: 1-line block ×7, first 2 shown]
	v_fma_f64 v[12:13], v[2:3], v[12:13], s[14:15]
	s_mov_b32 s14, 0x2eac0634
	s_mov_b32 s15, 0x41871934
	s_mov_b32 s21, 0x42f1a6a2
	v_fma_f64 v[12:13], v[2:3], v[12:13], s[14:15]
	s_mov_b32 s14, 0xad1c8325
	s_mov_b32 s15, 0xc1f1dc53
	v_add_f64 v[16:17], v[14:15], s[14:15]
	s_mov_b32 s14, 0xe0d900f7
	s_mov_b32 s15, 0xc2ec5614
	v_fma_f64 v[12:13], v[2:3], v[12:13], s[18:19]
	s_mov_b32 s18, 0x72182e46
	s_mov_b32 s19, 0x427ebeb3
	v_fma_f64 v[16:17], v[2:3], v[16:17], s[16:17]
	s_mov_b32 s16, 0x80462bbb
	s_mov_b32 s17, 0xc01721fb
	v_add_f64 v[18:19], v[2:3], s[16:17]
	s_mov_b32 s16, 0x69ff5fb4
	v_fma_f64 v[12:13], v[2:3], v[12:13], s[18:19]
	s_mov_b32 s18, 0xa621dd6f
	s_mov_b32 s19, 0xc03e78a4
	v_add_f64 v[20:21], v[2:3], s[18:19]
	v_fma_f64 v[16:17], v[2:3], v[16:17], s[14:15]
	s_mov_b32 s14, 0x7e7b2e9c
	s_mov_b32 s15, 0x435c4141
	;; [unrolled: 1-line block ×3, first 2 shown]
	v_fma_f64 v[12:13], v[2:3], v[12:13], s[20:21]
	v_mul_f64 v[18:19], v[18:19], v[20:21]
	v_fma_f64 v[16:17], v[2:3], v[16:17], s[16:17]
	v_fma_f64 v[12:13], v[2:3], v[12:13], s[14:15]
	s_mov_b32 s14, 0xc7b662cc
	s_mov_b32 s15, 0x43b7be34
	v_mul_f64 v[16:17], v[18:19], v[16:17]
	v_fma_f64 v[12:13], v[2:3], v[12:13], s[14:15]
	v_div_scale_f64 v[18:19], s[14:15], v[12:13], v[12:13], v[16:17]
	v_div_scale_f64 v[24:25], vcc, v[16:17], v[12:13], v[16:17]
	v_rcp_f64_e32 v[20:21], v[18:19]
	v_fma_f64 v[22:23], -v[18:19], v[20:21], 1.0
	v_fma_f64 v[20:21], v[20:21], v[22:23], v[20:21]
	v_fma_f64 v[22:23], -v[18:19], v[20:21], 1.0
	v_fma_f64 v[20:21], v[20:21], v[22:23], v[20:21]
	v_mul_f64 v[22:23], v[24:25], v[20:21]
	v_fma_f64 v[18:19], -v[18:19], v[22:23], v[24:25]
	v_div_fmas_f64 v[18:19], v[18:19], v[20:21], v[22:23]
	v_div_fixup_f64 v[12:13], v[18:19], v[12:13], v[16:17]
.LBB1_65:
	s_andn2_saveexec_b64 s[12:13], s[12:13]
	s_cbranch_execz .LBB1_67
; %bb.66:
	s_mov_b32 s14, 0
	s_mov_b32 s15, 0xbfd00000
	v_fma_f64 v[12:13], v[2:3], s[14:15], 1.0
.LBB1_67:
	s_or_b64 exec, exec, s[12:13]
	v_frexp_mant_f64_e32 v[16:17], v[4:5]
	s_mov_b32 s13, 0x3fe55555
	s_mov_b32 s12, 0x55555555
	s_mov_b32 s14, 0xbf559e2b
	s_mov_b32 s15, 0x3fc3ab76
	s_mov_b32 s18, 0xd7f4df2e
	s_mov_b32 s19, 0x3fc7474d
	s_mov_b32 s24, 0x16291751
	v_cmp_gt_f64_e32 vcc, s[12:13], v[16:17]
	s_mov_b32 s25, 0x3fcc71c0
	s_mov_b32 s16, 0x32e48896
	;; [unrolled: 1-line block ×7, first 2 shown]
	v_cndmask_b32_e64 v18, 0, 1, vcc
	v_ldexp_f64 v[16:17], v[16:17], v18
	s_mov_b32 s23, 0x42d3ea72
	s_mov_b32 s26, 0x660b4003
	;; [unrolled: 1-line block ×3, first 2 shown]
	v_add_f64 v[18:19], v[16:17], 1.0
	v_add_f64 v[24:25], v[16:17], -1.0
	v_rcp_f64_e32 v[20:21], v[18:19]
	v_add_f64 v[27:28], v[18:19], -1.0
	v_add_f64 v[16:17], v[16:17], -v[27:28]
	v_fma_f64 v[22:23], -v[18:19], v[20:21], 1.0
	v_fma_f64 v[20:21], v[22:23], v[20:21], v[20:21]
	v_fma_f64 v[22:23], -v[18:19], v[20:21], 1.0
	v_fma_f64 v[20:21], v[22:23], v[20:21], v[20:21]
	v_mul_f64 v[22:23], v[24:25], v[20:21]
	v_mul_f64 v[29:30], v[18:19], v[22:23]
	v_fma_f64 v[18:19], v[22:23], v[18:19], -v[29:30]
	v_fma_f64 v[16:17], v[22:23], v[16:17], v[18:19]
	v_add_f64 v[18:19], v[29:30], v[16:17]
	v_add_f64 v[27:28], v[24:25], -v[18:19]
	v_add_f64 v[29:30], v[18:19], -v[29:30]
	;; [unrolled: 1-line block ×5, first 2 shown]
	v_mov_b32_e32 v24, 0x6b47b09a
	v_mov_b32_e32 v25, 0x3fc38538
	v_add_f64 v[16:17], v[16:17], v[18:19]
	v_add_f64 v[16:17], v[27:28], v[16:17]
	v_mul_f64 v[16:17], v[20:21], v[16:17]
	v_add_f64 v[18:19], v[22:23], v[16:17]
	v_mul_f64 v[20:21], v[18:19], v[18:19]
	v_fma_f64 v[24:25], v[20:21], s[14:15], v[24:25]
	s_mov_b32 s14, 0xe896898f
	s_mov_b32 s15, 0x40ce7437
	v_add_f64 v[27:28], v[14:15], s[14:15]
	s_mov_b32 s14, 0x9b27acf1
	s_mov_b32 s15, 0x3fd24924
	v_mul_f64 v[29:30], v[18:19], v[20:21]
	v_fma_f64 v[24:25], v[20:21], v[24:25], s[18:19]
	s_mov_b32 s18, 0xf0284cdd
	s_mov_b32 s19, 0x41f43f78
	v_fma_f64 v[27:28], v[2:3], v[27:28], s[16:17]
	s_mov_b32 s16, 0x5164d101
	s_mov_b32 s17, 0x41b00763
	;; [unrolled: 3-line block ×3, first 2 shown]
	v_fma_f64 v[27:28], v[2:3], v[27:28], s[18:19]
	v_fma_f64 v[24:25], v[20:21], v[24:25], s[14:15]
	s_mov_b32 s14, 0x576dfcb6
	s_mov_b32 s15, 0x40904522
	v_add_f64 v[14:15], v[14:15], s[14:15]
	s_mov_b32 s14, 0x998ef7b6
	s_mov_b32 s15, 0x3fd99999
	v_fma_f64 v[24:25], v[20:21], v[24:25], s[14:15]
	s_mov_b32 s14, 0xa907bc0c
	s_mov_b32 s15, 0x41231b76
	v_fma_f64 v[14:15], v[2:3], v[14:15], s[14:15]
	;; [unrolled: 3-line block ×3, first 2 shown]
	v_fma_f64 v[24:25], v[2:3], v[27:28], s[20:21]
	v_ldexp_f64 v[27:28], v[18:19], 1
	v_fma_f64 v[14:15], v[2:3], v[14:15], s[16:17]
	s_mov_b32 s12, 0x2b8664bc
	s_mov_b32 s13, 0x42341ddb
	v_add_f64 v[18:19], v[18:19], -v[22:23]
	s_mov_b32 s16, 0xdfeb596d
	v_mul_f64 v[20:21], v[29:30], v[20:21]
	v_frexp_exp_i32_f64_e32 v29, v[4:5]
	s_mov_b32 s17, 0x43268910
	v_fma_f64 v[4:5], v[2:3], v[14:15], s[12:13]
	v_fma_f64 v[14:15], v[2:3], v[24:25], s[22:23]
	s_mov_b32 s12, 0xfefa39ef
	s_mov_b32 s13, 0x3fe62e42
	v_add_f64 v[16:17], v[16:17], -v[18:19]
	v_add_f64 v[22:23], v[27:28], v[20:21]
	v_subbrev_co_u32_e32 v24, vcc, 0, v29, vcc
	v_cvt_f64_i32_e32 v[24:25], v24
	v_fma_f64 v[4:5], v[2:3], v[4:5], s[14:15]
	v_fma_f64 v[14:15], v[2:3], v[14:15], s[24:25]
	s_mov_b32 s14, 0xbcf9b5d0
	v_mul_f64 v[29:30], v[24:25], s[12:13]
	v_add_f64 v[18:19], v[22:23], -v[27:28]
	v_ldexp_f64 v[16:17], v[16:17], 1
	s_mov_b32 s15, 0x438bd25f
	v_fma_f64 v[4:5], v[2:3], v[4:5], s[16:17]
	v_fma_f64 v[14:15], v[2:3], v[14:15], s[26:27]
	v_fma_f64 v[27:28], v[24:25], s[12:13], -v[29:30]
	v_add_f64 v[18:19], v[20:21], -v[18:19]
	s_mov_b32 s12, 0x5906367b
	s_mov_b32 s13, 0xc3506d4b
	v_fma_f64 v[4:5], v[2:3], v[4:5], s[14:15]
	v_fma_f64 v[2:3], v[2:3], v[14:15], s[12:13]
	s_mov_b32 s12, 0x3b39803f
	s_mov_b32 s13, 0x3c7abc9e
	v_fma_f64 v[14:15], v[24:25], s[12:13], v[27:28]
	v_add_f64 v[16:17], v[16:17], v[18:19]
	v_div_scale_f64 v[18:19], s[12:13], v[4:5], v[4:5], v[2:3]
	s_mov_b32 s12, 0x6dc9c883
	v_add_f64 v[20:21], v[29:30], v[14:15]
	v_add_f64 v[24:25], v[22:23], v[16:17]
	s_mov_b32 s13, 0x3fe45f30
	v_add_f64 v[29:30], v[20:21], -v[29:30]
	v_add_f64 v[27:28], v[20:21], v[24:25]
	v_add_f64 v[22:23], v[24:25], -v[22:23]
	v_rcp_f64_e32 v[31:32], v[18:19]
	v_add_f64 v[14:15], v[14:15], -v[29:30]
	v_add_f64 v[33:34], v[27:28], -v[20:21]
	;; [unrolled: 1-line block ×5, first 2 shown]
	v_add_f64 v[29:30], v[14:15], v[16:17]
	v_fma_f64 v[37:38], -v[18:19], v[31:32], 1.0
	v_add_f64 v[20:21], v[20:21], -v[35:36]
	v_add_f64 v[33:34], v[29:30], -v[14:15]
	v_fma_f64 v[24:25], v[31:32], v[37:38], v[31:32]
	v_div_scale_f64 v[31:32], vcc, v[2:3], v[4:5], v[2:3]
	v_add_f64 v[20:21], v[22:23], v[20:21]
	v_add_f64 v[16:17], v[16:17], -v[33:34]
	v_fma_f64 v[22:23], -v[18:19], v[24:25], 1.0
	v_add_f64 v[20:21], v[29:30], v[20:21]
	v_fma_f64 v[22:23], v[24:25], v[22:23], v[24:25]
	v_add_f64 v[24:25], v[29:30], -v[33:34]
	v_add_f64 v[29:30], v[27:28], v[20:21]
	v_mul_f64 v[35:36], v[31:32], v[22:23]
	v_add_f64 v[14:15], v[14:15], -v[24:25]
	v_add_f64 v[24:25], v[29:30], -v[27:28]
	v_fma_f64 v[18:19], -v[18:19], v[35:36], v[31:32]
	v_add_f64 v[14:15], v[16:17], v[14:15]
	v_add_f64 v[16:17], v[20:21], -v[24:25]
	v_div_fmas_f64 v[18:19], v[18:19], v[22:23], v[35:36]
	v_add_f64 v[14:15], v[14:15], v[16:17]
	v_add_f64 v[14:15], v[29:30], v[14:15]
	v_div_fixup_f64 v[2:3], v[18:19], v[4:5], v[2:3]
	v_mul_f64 v[4:5], v[14:15], s[12:13]
	v_fma_f64 v[12:13], v[4:5], v[12:13], v[2:3]
.LBB1_68:
	s_or_b64 exec, exec, s[10:11]
.LBB1_69:
	s_or_b64 exec, exec, s[8:9]
                                        ; implicit-def: $vgpr4_vgpr5
.LBB1_70:
	s_andn2_saveexec_b64 s[8:9], s[4:5]
	s_cbranch_execz .LBB1_80
; %bb.71:
	s_mov_b32 s13, 0xbfe921fb
	s_mov_b32 s12, 0x54442d18
	v_add_f64 v[2:3], v[4:5], s[12:13]
	s_mov_b32 s4, 0
	s_mov_b32 s5, 0x41d00000
                                        ; implicit-def: $vgpr28
                                        ; implicit-def: $vgpr16_vgpr17
                                        ; implicit-def: $vgpr18_vgpr19
	v_trig_preop_f64 v[24:25], |v[2:3]|, 0
	v_trig_preop_f64 v[22:23], |v[2:3]|, 1
	;; [unrolled: 1-line block ×3, first 2 shown]
	v_cmp_nlt_f64_e64 s[10:11], |v[2:3]|, s[4:5]
	s_and_saveexec_b64 s[4:5], s[10:11]
	s_xor_b64 s[14:15], exec, s[4:5]
	s_cbranch_execz .LBB1_73
; %bb.72:
	s_mov_b32 s4, 0
	s_mov_b32 s5, 0x7b000000
	v_cmp_ge_f64_e64 vcc, |v[2:3]|, s[4:5]
	s_movk_i32 s4, 0xff80
	v_ldexp_f64 v[12:13], |v[2:3]|, s4
	v_and_b32_e32 v14, 0x7fffffff, v3
	s_mov_b32 s4, 0
	s_mov_b32 s5, 0x7ff00000
	;; [unrolled: 1-line block ×3, first 2 shown]
	v_cndmask_b32_e32 v13, v14, v13, vcc
	v_cndmask_b32_e32 v12, v2, v12, vcc
	v_mul_f64 v[16:17], v[24:25], v[12:13]
	v_mul_f64 v[14:15], v[22:23], v[12:13]
	v_fma_f64 v[18:19], v[24:25], v[12:13], -v[16:17]
	v_add_f64 v[27:28], v[14:15], v[18:19]
	v_add_f64 v[35:36], v[27:28], -v[14:15]
	v_add_f64 v[29:30], v[16:17], v[27:28]
	v_add_f64 v[18:19], v[18:19], -v[35:36]
	v_add_f64 v[35:36], v[27:28], -v[35:36]
	v_ldexp_f64 v[31:32], v[29:30], -2
	v_add_f64 v[16:17], v[29:30], -v[16:17]
	v_add_f64 v[35:36], v[14:15], -v[35:36]
	v_fma_f64 v[14:15], v[22:23], v[12:13], -v[14:15]
	v_add_f64 v[16:17], v[27:28], -v[16:17]
	v_fract_f64_e32 v[33:34], v[31:32]
	v_cmp_neq_f64_e64 vcc, |v[31:32]|, s[4:5]
	v_add_f64 v[18:19], v[18:19], v[35:36]
	v_mul_f64 v[35:36], v[20:21], v[12:13]
	v_add_f64 v[37:38], v[35:36], v[14:15]
	v_fma_f64 v[12:13], v[20:21], v[12:13], -v[35:36]
	v_add_f64 v[48:49], v[37:38], v[18:19]
	v_add_f64 v[29:30], v[48:49], -v[37:38]
	v_add_f64 v[27:28], v[16:17], v[48:49]
	v_add_f64 v[18:19], v[18:19], -v[29:30]
	v_add_f64 v[29:30], v[48:49], -v[29:30]
	;; [unrolled: 1-line block ×5, first 2 shown]
	v_add_f64 v[18:19], v[18:19], v[29:30]
	v_add_f64 v[29:30], v[37:38], -v[35:36]
	v_add_f64 v[14:15], v[14:15], -v[29:30]
	;; [unrolled: 1-line block ×4, first 2 shown]
	v_add_f64 v[14:15], v[14:15], v[29:30]
	v_add_f64 v[14:15], v[14:15], v[18:19]
	;; [unrolled: 1-line block ×3, first 2 shown]
	v_ldexp_f64 v[14:15], v[33:34], 2
	v_add_f64 v[12:13], v[16:17], v[12:13]
	v_cndmask_b32_e32 v15, 0, v15, vcc
	v_cndmask_b32_e32 v14, 0, v14, vcc
	v_add_f64 v[16:17], v[27:28], v[14:15]
	v_cmp_gt_f64_e32 vcc, 0, v[16:17]
	v_mov_b32_e32 v16, 0x40100000
	v_cndmask_b32_e32 v17, 0, v16, vcc
	v_mov_b32_e32 v16, 0
	v_add_f64 v[14:15], v[14:15], v[16:17]
	v_add_f64 v[17:18], v[27:28], v[14:15]
	v_cvt_i32_f64_e32 v29, v[17:18]
	v_cvt_f64_i32_e32 v[17:18], v29
	v_add_f64 v[14:15], v[14:15], -v[17:18]
	v_add_f64 v[18:19], v[27:28], v[14:15]
	v_add_f64 v[14:15], v[18:19], -v[14:15]
	v_cmp_le_f64_e32 vcc, 0.5, v[18:19]
	v_add_f64 v[14:15], v[27:28], -v[14:15]
	v_addc_co_u32_e64 v28, s[4:5], 0, v29, vcc
	s_mov_b32 s4, 0x33145c07
	s_mov_b32 s5, 0x3c91a626
	v_add_f64 v[12:13], v[12:13], v[14:15]
	v_mov_b32_e32 v14, 0x3ff00000
	v_cndmask_b32_e32 v17, 0, v14, vcc
	v_add_f64 v[14:15], v[18:19], -v[16:17]
	v_add_f64 v[16:17], v[14:15], v[12:13]
	v_add_f64 v[14:15], v[16:17], -v[14:15]
	v_add_f64 v[12:13], v[12:13], -v[14:15]
	v_mul_f64 v[14:15], v[16:17], s[12:13]
	v_fma_f64 v[18:19], v[16:17], s[12:13], -v[14:15]
	v_fma_f64 v[16:17], v[16:17], s[4:5], v[18:19]
	v_fma_f64 v[12:13], v[12:13], s[12:13], v[16:17]
	v_add_f64 v[16:17], v[14:15], v[12:13]
	v_add_f64 v[14:15], v[16:17], -v[14:15]
	v_add_f64 v[18:19], v[12:13], -v[14:15]
	s_andn2_saveexec_b64 s[4:5], s[14:15]
	s_cbranch_execz .LBB1_75
	s_branch .LBB1_74
.LBB1_73:
	s_andn2_saveexec_b64 s[4:5], s[14:15]
	s_cbranch_execz .LBB1_75
.LBB1_74:
	s_mov_b32 s12, 0x6dc9c883
	s_mov_b32 s13, 0x3fe45f30
	v_mul_f64 v[12:13], |v[2:3]|, s[12:13]
	s_mov_b32 s12, 0x54442d18
	s_mov_b32 s13, 0xbff921fb
	;; [unrolled: 1-line block ×4, first 2 shown]
	v_rndne_f64_e32 v[12:13], v[12:13]
	v_fma_f64 v[14:15], v[12:13], s[12:13], |v[2:3]|
	v_mul_f64 v[16:17], v[12:13], s[14:15]
	s_mov_b32 s12, 0x252049c0
	s_mov_b32 s13, 0xb97b839a
	v_add_f64 v[18:19], v[14:15], v[16:17]
	v_add_f64 v[27:28], v[14:15], -v[18:19]
	v_fma_f64 v[14:15], v[12:13], s[14:15], v[14:15]
	s_mov_b32 s15, 0x3c91a626
	v_add_f64 v[27:28], v[27:28], v[16:17]
	v_add_f64 v[18:19], v[18:19], -v[14:15]
	v_fma_f64 v[16:17], v[12:13], s[14:15], v[16:17]
	v_add_f64 v[18:19], v[18:19], v[27:28]
	v_cvt_i32_f64_e32 v28, v[12:13]
	v_add_f64 v[16:17], v[18:19], -v[16:17]
	v_fma_f64 v[18:19], v[12:13], s[12:13], v[16:17]
	v_add_f64 v[16:17], v[14:15], v[18:19]
	v_add_f64 v[14:15], v[16:17], -v[14:15]
	v_add_f64 v[18:19], v[18:19], -v[14:15]
.LBB1_75:
	s_or_b64 exec, exec, s[4:5]
                                        ; implicit-def: $vgpr27
                                        ; implicit-def: $vgpr12_vgpr13
                                        ; implicit-def: $vgpr14_vgpr15
	s_and_saveexec_b64 s[4:5], s[10:11]
	s_xor_b64 s[10:11], exec, s[4:5]
	s_cbranch_execz .LBB1_77
; %bb.76:
	s_mov_b32 s4, 0
	s_mov_b32 s5, 0x7b000000
	v_cmp_ge_f64_e64 vcc, |v[2:3]|, s[4:5]
	s_movk_i32 s4, 0xff80
	v_ldexp_f64 v[12:13], |v[2:3]|, s4
	v_and_b32_e32 v14, 0x7fffffff, v3
	s_mov_b32 s4, 0
	s_mov_b32 s5, 0x7ff00000
	;; [unrolled: 1-line block ×4, first 2 shown]
	v_cndmask_b32_e32 v13, v14, v13, vcc
	v_cndmask_b32_e32 v12, v2, v12, vcc
	v_mul_f64 v[29:30], v[24:25], v[12:13]
	v_mul_f64 v[14:15], v[22:23], v[12:13]
	v_fma_f64 v[24:25], v[24:25], v[12:13], -v[29:30]
	v_add_f64 v[31:32], v[14:15], v[24:25]
	v_add_f64 v[48:49], v[31:32], -v[14:15]
	v_add_f64 v[33:34], v[29:30], v[31:32]
	v_add_f64 v[24:25], v[24:25], -v[48:49]
	v_add_f64 v[48:49], v[31:32], -v[48:49]
	v_ldexp_f64 v[35:36], v[33:34], -2
	v_add_f64 v[29:30], v[33:34], -v[29:30]
	v_add_f64 v[48:49], v[14:15], -v[48:49]
	v_fma_f64 v[14:15], v[22:23], v[12:13], -v[14:15]
	v_mul_f64 v[22:23], v[20:21], v[12:13]
	v_fract_f64_e32 v[37:38], v[35:36]
	v_add_f64 v[29:30], v[31:32], -v[29:30]
	v_cmp_neq_f64_e64 vcc, |v[35:36]|, s[4:5]
	v_add_f64 v[24:25], v[24:25], v[48:49]
	v_add_f64 v[48:49], v[22:23], v[14:15]
	v_fma_f64 v[12:13], v[20:21], v[12:13], -v[22:23]
	v_add_f64 v[50:51], v[48:49], v[24:25]
	v_add_f64 v[33:34], v[50:51], -v[48:49]
	v_add_f64 v[31:32], v[29:30], v[50:51]
	v_add_f64 v[24:25], v[24:25], -v[33:34]
	v_add_f64 v[33:34], v[50:51], -v[33:34]
	v_add_f64 v[29:30], v[31:32], -v[29:30]
	v_add_f64 v[33:34], v[48:49], -v[33:34]
	v_add_f64 v[29:30], v[50:51], -v[29:30]
	v_add_f64 v[24:25], v[24:25], v[33:34]
	v_add_f64 v[33:34], v[48:49], -v[22:23]
	v_add_f64 v[14:15], v[14:15], -v[33:34]
	;; [unrolled: 1-line block ×4, first 2 shown]
	v_add_f64 v[14:15], v[14:15], v[33:34]
	v_add_f64 v[14:15], v[14:15], v[24:25]
	;; [unrolled: 1-line block ×3, first 2 shown]
	v_ldexp_f64 v[14:15], v[37:38], 2
	v_add_f64 v[12:13], v[29:30], v[12:13]
	v_cndmask_b32_e32 v15, 0, v15, vcc
	v_cndmask_b32_e32 v14, 0, v14, vcc
	v_add_f64 v[20:21], v[31:32], v[14:15]
	v_cmp_gt_f64_e32 vcc, 0, v[20:21]
	v_mov_b32_e32 v20, 0x40100000
	v_cndmask_b32_e32 v21, 0, v20, vcc
	v_mov_b32_e32 v20, 0
	v_add_f64 v[14:15], v[14:15], v[20:21]
	v_add_f64 v[21:22], v[31:32], v[14:15]
	v_cvt_i32_f64_e32 v24, v[21:22]
	v_cvt_f64_i32_e32 v[21:22], v24
	v_add_f64 v[14:15], v[14:15], -v[21:22]
	v_add_f64 v[22:23], v[31:32], v[14:15]
	v_add_f64 v[14:15], v[22:23], -v[14:15]
	v_cmp_le_f64_e32 vcc, 0.5, v[22:23]
	v_add_f64 v[14:15], v[31:32], -v[14:15]
	v_addc_co_u32_e64 v27, s[4:5], 0, v24, vcc
	s_mov_b32 s4, 0x54442d18
	s_mov_b32 s5, 0x3ff921fb
	v_add_f64 v[12:13], v[12:13], v[14:15]
	v_mov_b32_e32 v14, 0x3ff00000
	v_cndmask_b32_e32 v21, 0, v14, vcc
	v_add_f64 v[14:15], v[22:23], -v[20:21]
	v_add_f64 v[20:21], v[14:15], v[12:13]
	v_add_f64 v[14:15], v[20:21], -v[14:15]
	v_add_f64 v[12:13], v[12:13], -v[14:15]
	v_mul_f64 v[14:15], v[20:21], s[4:5]
	v_fma_f64 v[22:23], v[20:21], s[4:5], -v[14:15]
	v_fma_f64 v[20:21], v[20:21], s[12:13], v[22:23]
	v_fma_f64 v[20:21], v[12:13], s[4:5], v[20:21]
	v_add_f64 v[12:13], v[14:15], v[20:21]
	v_add_f64 v[14:15], v[12:13], -v[14:15]
	v_add_f64 v[14:15], v[20:21], -v[14:15]
	s_andn2_saveexec_b64 s[4:5], s[10:11]
	s_cbranch_execnz .LBB1_78
	s_branch .LBB1_79
.LBB1_77:
	s_andn2_saveexec_b64 s[4:5], s[10:11]
	s_cbranch_execz .LBB1_79
.LBB1_78:
	s_mov_b32 s10, 0x6dc9c883
	s_mov_b32 s11, 0x3fe45f30
	v_mul_f64 v[12:13], |v[2:3]|, s[10:11]
	s_mov_b32 s10, 0x54442d18
	s_mov_b32 s11, 0xbff921fb
	;; [unrolled: 1-line block ×4, first 2 shown]
	v_rndne_f64_e32 v[20:21], v[12:13]
	v_fma_f64 v[12:13], v[20:21], s[10:11], |v[2:3]|
	v_mul_f64 v[14:15], v[20:21], s[12:13]
	s_mov_b32 s10, 0x252049c0
	s_mov_b32 s11, 0xb97b839a
	v_cvt_i32_f64_e32 v27, v[20:21]
	v_fma_f64 v[29:30], v[20:21], s[12:13], v[12:13]
	v_add_f64 v[22:23], v[12:13], v[14:15]
	s_mov_b32 s13, 0x3c91a626
	v_add_f64 v[24:25], v[12:13], -v[22:23]
	v_add_f64 v[22:23], v[22:23], -v[29:30]
	v_add_f64 v[12:13], v[24:25], v[14:15]
	v_fma_f64 v[14:15], v[20:21], s[12:13], v[14:15]
	v_add_f64 v[12:13], v[22:23], v[12:13]
	v_add_f64 v[12:13], v[12:13], -v[14:15]
	v_fma_f64 v[14:15], v[20:21], s[10:11], v[12:13]
	v_add_f64 v[12:13], v[29:30], v[14:15]
	v_add_f64 v[22:23], v[12:13], -v[29:30]
	v_add_f64 v[14:15], v[14:15], -v[22:23]
.LBB1_79:
	s_or_b64 exec, exec, s[4:5]
	v_mul_f64 v[20:21], v[4:5], v[4:5]
	s_mov_b32 s4, 0
	s_mov_b32 s5, 0x40390000
	;; [unrolled: 1-line block ×7, first 2 shown]
	v_div_scale_f64 v[22:23], s[10:11], v[20:21], v[20:21], s[4:5]
	s_mov_b32 s10, 0x46cc5e42
	s_mov_b32 s11, 0xbda907db
	;; [unrolled: 1-line block ×13, first 2 shown]
	v_mul_f64 v[50:51], v[18:19], 0.5
	v_rcp_f64_e32 v[24:25], v[22:23]
	s_mov_b32 s23, 0xbfc55555
	s_mov_b32 s22, s18
	;; [unrolled: 1-line block ×3, first 2 shown]
	v_mov_b32_e32 v39, 0x7ff80000
	s_mov_b32 s41, 0x40140000
	v_fma_f64 v[29:30], -v[22:23], v[24:25], 1.0
	v_fma_f64 v[24:25], v[24:25], v[29:30], v[24:25]
	v_fma_f64 v[29:30], -v[22:23], v[24:25], 1.0
	v_fma_f64 v[24:25], v[24:25], v[29:30], v[24:25]
	v_div_scale_f64 v[29:30], vcc, s[4:5], v[20:21], s[4:5]
	v_mul_f64 v[31:32], v[29:30], v[24:25]
	v_fma_f64 v[22:23], -v[22:23], v[31:32], v[29:30]
	v_mov_b32_e32 v29, 0x38a5384a
	v_mov_b32_e32 v30, 0xbf874742
	v_div_fmas_f64 v[22:23], v[22:23], v[24:25], v[31:32]
	v_mov_b32_e32 v24, 0xce039737
	v_mov_b32_e32 v25, 0x3f4e4a80
	v_mov_b32_e32 v31, 0x413c25ac
	v_mov_b32_e32 v32, 0x40501457
	v_div_fixup_f64 v[20:21], v[22:23], v[20:21], s[4:5]
	v_mov_b32_e32 v22, 0x983b6b27
	v_mov_b32_e32 v23, 0x3f4a1d30
	s_mov_b32 s4, 0xb35dd1cf
	s_mov_b32 s5, 0x3fb534b0
	v_fma_f64 v[22:23], v[20:21], 0, v[22:23]
	v_fma_f64 v[24:25], v[20:21], 0, v[24:25]
	v_fma_f64 v[29:30], v[20:21], 0, v[29:30]
	v_fma_f64 v[31:32], v[20:21], 0, v[31:32]
	v_fma_f64 v[22:23], v[20:21], v[22:23], s[4:5]
	s_mov_b32 s4, 0x4e680b98
	s_mov_b32 s5, 0x3ff3d521
	v_fma_f64 v[22:23], v[20:21], v[22:23], s[4:5]
	s_mov_b32 s4, 0xe97a0956
	s_mov_b32 s5, 0x4015c9fb
	v_fma_f64 v[22:23], v[20:21], v[22:23], s[4:5]
	;; [unrolled: 3-line block ×10, first 2 shown]
	s_mov_b32 s4, 0xf50e2c0c
	s_mov_b32 s5, 0xc0338dcf
	v_fma_f64 v[24:25], v[20:21], v[24:25], 1.0
	v_fma_f64 v[29:30], v[20:21], v[29:30], s[4:5]
	s_mov_b32 s4, 0x5a6de8c4
	s_mov_b32 s5, 0xc0574d2f
	v_fma_f64 v[29:30], v[20:21], v[29:30], s[4:5]
	s_mov_b32 s4, 0x20cae8ea
	s_mov_b32 s5, 0xc06635cc
	;; [unrolled: 3-line block ×11, first 2 shown]
	v_fma_f64 v[31:32], v[20:21], v[31:32], s[4:5]
	v_fma_f64 v[20:21], v[20:21], v[22:23], 1.0
	v_div_scale_f64 v[22:23], s[4:5], v[24:25], v[24:25], v[20:21]
	s_mov_b32 s4, 0x9037ab78
	s_mov_b32 s5, 0x3e21eeb6
	v_rcp_f64_e32 v[33:34], v[22:23]
	v_fma_f64 v[35:36], -v[22:23], v[33:34], 1.0
	v_fma_f64 v[33:34], v[33:34], v[35:36], v[33:34]
	v_fma_f64 v[35:36], -v[22:23], v[33:34], 1.0
	v_fma_f64 v[33:34], v[33:34], v[35:36], v[33:34]
	v_div_scale_f64 v[35:36], vcc, v[20:21], v[24:25], v[20:21]
	v_mul_f64 v[37:38], v[35:36], v[33:34]
	v_fma_f64 v[22:23], -v[22:23], v[37:38], v[35:36]
	s_nop 1
	v_div_fmas_f64 v[22:23], v[22:23], v[33:34], v[37:38]
	v_mov_b32_e32 v38, s5
	v_mov_b32_e32 v37, s4
	s_mov_b32 s4, 0xb42fdfa7
	s_mov_b32 s5, 0xbe5ae600
	v_div_fixup_f64 v[20:21], v[22:23], v[24:25], v[20:21]
	v_mul_f64 v[22:23], v[16:17], v[16:17]
	v_mul_f64 v[24:25], v[22:23], 0.5
	v_fma_f64 v[48:49], v[22:23], s[10:11], v[37:38]
	v_add_f64 v[33:34], -v[24:25], 1.0
	v_fma_f64 v[48:49], v[22:23], v[48:49], s[14:15]
	v_add_f64 v[35:36], -v[33:34], 1.0
	v_fma_f64 v[48:49], v[22:23], v[48:49], s[12:13]
	v_add_f64 v[24:25], v[35:36], -v[24:25]
	v_fma_f64 v[48:49], v[22:23], v[48:49], s[16:17]
	v_mul_f64 v[35:36], v[22:23], v[22:23]
	v_fma_f64 v[24:25], v[16:17], -v[18:19], v[24:25]
	v_fma_f64 v[48:49], v[22:23], v[48:49], s[18:19]
	v_fma_f64 v[24:25], v[35:36], v[48:49], v[24:25]
	v_mul_f64 v[48:49], v[16:17], -v[22:23]
	v_add_f64 v[24:25], v[33:34], v[24:25]
	v_mov_b32_e32 v34, s5
	v_mov_b32_e32 v33, s4
	v_fma_f64 v[35:36], v[22:23], s[20:21], v[33:34]
	s_movk_i32 s4, 0x1f8
	v_cmp_class_f64_e64 s[4:5], v[2:3], s4
	v_fma_f64 v[35:36], v[22:23], v[35:36], s[28:29]
	v_fma_f64 v[35:36], v[22:23], v[35:36], s[24:25]
	;; [unrolled: 1-line block ×4, first 2 shown]
	v_fma_f64 v[18:19], v[22:23], v[35:36], -v[18:19]
	v_fma_f64 v[18:19], v[48:49], s[22:23], v[18:19]
	v_add_f64 v[16:17], v[16:17], -v[18:19]
	v_and_b32_e32 v18, 1, v28
	v_cmp_eq_u32_e32 vcc, 0, v18
	v_lshlrev_b32_e32 v18, 30, v28
	v_xor_b32_e32 v18, v18, v3
	v_and_b32_e32 v18, 0x80000000, v18
	v_cndmask_b32_e32 v17, v25, v17, vcc
	v_cndmask_b32_e32 v16, v24, v16, vcc
	v_xor_b32_e32 v17, v17, v18
	v_cndmask_b32_e64 v2, 0, v16, s[4:5]
	v_cndmask_b32_e64 v3, v39, v17, s[4:5]
	v_div_scale_f64 v[16:17], s[42:43], v[4:5], v[4:5], s[40:41]
	v_rcp_f64_e32 v[18:19], v[16:17]
	v_fma_f64 v[22:23], -v[16:17], v[18:19], 1.0
	v_fma_f64 v[18:19], v[18:19], v[22:23], v[18:19]
	v_fma_f64 v[22:23], -v[16:17], v[18:19], 1.0
	v_fma_f64 v[18:19], v[18:19], v[22:23], v[18:19]
	v_div_scale_f64 v[22:23], vcc, s[40:41], v[4:5], s[40:41]
	v_mul_f64 v[24:25], v[22:23], v[18:19]
	v_fma_f64 v[16:17], -v[16:17], v[24:25], v[22:23]
	s_nop 1
	v_div_fmas_f64 v[16:17], v[16:17], v[18:19], v[24:25]
	v_div_fixup_f64 v[16:17], v[16:17], v[4:5], s[40:41]
	v_div_scale_f64 v[18:19], s[40:41], v[31:32], v[31:32], v[29:30]
	v_rcp_f64_e32 v[22:23], v[18:19]
	v_fma_f64 v[24:25], -v[18:19], v[22:23], 1.0
	v_fma_f64 v[22:23], v[22:23], v[24:25], v[22:23]
	v_fma_f64 v[24:25], -v[18:19], v[22:23], 1.0
	v_fma_f64 v[22:23], v[22:23], v[24:25], v[22:23]
	v_div_scale_f64 v[24:25], vcc, v[29:30], v[31:32], v[29:30]
	v_mul_f64 v[35:36], v[24:25], v[22:23]
	v_fma_f64 v[18:19], -v[18:19], v[35:36], v[24:25]
	s_nop 1
	v_div_fmas_f64 v[18:19], v[18:19], v[22:23], v[35:36]
	v_div_fixup_f64 v[18:19], v[18:19], v[31:32], v[29:30]
	v_mul_f64 v[16:17], v[16:17], v[18:19]
	v_mul_f64 v[18:19], v[12:13], v[12:13]
	v_mul_f64 v[22:23], v[18:19], 0.5
	v_fma_f64 v[30:31], v[18:19], s[10:11], v[37:38]
	v_add_f64 v[24:25], -v[22:23], 1.0
	v_fma_f64 v[30:31], v[18:19], v[30:31], s[14:15]
	v_add_f64 v[28:29], -v[24:25], 1.0
	v_fma_f64 v[30:31], v[18:19], v[30:31], s[12:13]
	v_add_f64 v[22:23], v[28:29], -v[22:23]
	v_fma_f64 v[30:31], v[18:19], v[30:31], s[16:17]
	v_mul_f64 v[28:29], v[18:19], v[18:19]
	v_fma_f64 v[22:23], v[12:13], -v[14:15], v[22:23]
	v_fma_f64 v[30:31], v[18:19], v[30:31], s[18:19]
	v_fma_f64 v[22:23], v[28:29], v[30:31], v[22:23]
	v_mul_f64 v[28:29], v[12:13], -v[18:19]
	v_mul_f64 v[30:31], v[14:15], 0.5
	v_add_f64 v[22:23], v[24:25], v[22:23]
	v_fma_f64 v[24:25], v[18:19], s[20:21], v[33:34]
	v_fma_f64 v[24:25], v[18:19], v[24:25], s[28:29]
	;; [unrolled: 1-line block ×5, first 2 shown]
	v_fma_f64 v[14:15], v[18:19], v[24:25], -v[14:15]
	v_fma_f64 v[14:15], v[28:29], s[22:23], v[14:15]
	v_add_f64 v[12:13], v[12:13], -v[14:15]
	v_and_b32_e32 v14, 1, v27
	v_cmp_eq_u32_e32 vcc, 0, v14
	v_lshlrev_b32_e32 v14, 30, v27
	v_and_b32_e32 v14, 0x80000000, v14
	v_xor_b32_e32 v13, 0x80000000, v13
	v_cndmask_b32_e32 v13, v13, v23, vcc
	v_cndmask_b32_e32 v12, v12, v22, vcc
	v_xor_b32_e32 v13, v13, v14
	v_cndmask_b32_e64 v12, 0, v12, s[4:5]
	v_cndmask_b32_e64 v13, v39, v13, s[4:5]
	v_mul_f64 v[12:13], v[16:17], v[12:13]
	s_mov_b32 s4, 0x33d43651
	s_mov_b32 s5, 0x3fe98845
	v_fma_f64 v[2:3], v[20:21], v[2:3], v[12:13]
	v_mov_b32_e32 v12, 0x100
	v_mul_f64 v[2:3], v[2:3], s[4:5]
	s_mov_b32 s4, 0
	s_brev_b32 s5, 8
	v_cmp_gt_f64_e32 vcc, s[4:5], v[4:5]
	v_cndmask_b32_e32 v12, 0, v12, vcc
	v_ldexp_f64 v[4:5], v[4:5], v12
	v_rsq_f64_e32 v[12:13], v[4:5]
	v_mul_f64 v[14:15], v[4:5], v[12:13]
	v_mul_f64 v[12:13], v[12:13], 0.5
	v_fma_f64 v[16:17], -v[12:13], v[14:15], 0.5
	v_fma_f64 v[14:15], v[14:15], v[16:17], v[14:15]
	v_fma_f64 v[12:13], v[12:13], v[16:17], v[12:13]
	v_fma_f64 v[18:19], -v[14:15], v[14:15], v[4:5]
	v_fma_f64 v[14:15], v[18:19], v[12:13], v[14:15]
	v_fma_f64 v[16:17], -v[14:15], v[14:15], v[4:5]
	v_fma_f64 v[12:13], v[16:17], v[12:13], v[14:15]
	v_mov_b32_e32 v14, 0xffffff80
	v_cndmask_b32_e32 v14, 0, v14, vcc
	v_ldexp_f64 v[12:13], v[12:13], v14
	v_mov_b32_e32 v14, 0x260
	v_cmp_class_f64_e32 vcc, v[4:5], v14
	v_cndmask_b32_e32 v5, v13, v5, vcc
	v_cndmask_b32_e32 v4, v12, v4, vcc
	v_div_scale_f64 v[12:13], s[4:5], v[4:5], v[4:5], v[2:3]
	v_rcp_f64_e32 v[14:15], v[12:13]
	v_fma_f64 v[16:17], -v[12:13], v[14:15], 1.0
	v_fma_f64 v[14:15], v[14:15], v[16:17], v[14:15]
	v_fma_f64 v[16:17], -v[12:13], v[14:15], 1.0
	v_fma_f64 v[14:15], v[14:15], v[16:17], v[14:15]
	v_div_scale_f64 v[16:17], vcc, v[2:3], v[4:5], v[2:3]
	v_mul_f64 v[18:19], v[16:17], v[14:15]
	v_fma_f64 v[12:13], -v[12:13], v[18:19], v[16:17]
	s_nop 1
	v_div_fmas_f64 v[12:13], v[12:13], v[14:15], v[18:19]
	v_div_fixup_f64 v[12:13], v[12:13], v[4:5], v[2:3]
.LBB1_80:
	s_or_b64 exec, exec, s[8:9]
	v_mov_b32_e32 v2, s7
	v_add_co_u32_e32 v0, vcc, s6, v0
	v_addc_co_u32_e32 v1, vcc, v1, v2, vcc
	v_add_co_u32_e32 v0, vcc, v0, v26
	v_addc_co_u32_e32 v1, vcc, 0, v1, vcc
	flat_store_dwordx4 v[0:1], v[6:9]
	flat_store_dwordx4 v[0:1], v[10:13] offset:16
	s_waitcnt vmcnt(0) lgkmcnt(0)
	s_setpc_b64 s[30:31]
.Lfunc_end1:
	.size	_ZN2at6native25elementwise_kernel_helperILb0EZZZNS0_12_GLOBAL__N_121bessel_y0_kernel_cudaERNS_18TensorIteratorBaseEENKUlvE_clEvENKUlvE_clEvEUldE_NS0_6memory8policies10vectorizedILi4ESt5arrayIPcLm2EELi4EEEEEvT0_T1_, .Lfunc_end1-_ZN2at6native25elementwise_kernel_helperILb0EZZZNS0_12_GLOBAL__N_121bessel_y0_kernel_cudaERNS_18TensorIteratorBaseEENKUlvE_clEvENKUlvE_clEvEUldE_NS0_6memory8policies10vectorizedILi4ESt5arrayIPcLm2EELi4EEEEEvT0_T1_
                                        ; -- End function
	.set .L_ZN2at6native25elementwise_kernel_helperILb0EZZZNS0_12_GLOBAL__N_121bessel_y0_kernel_cudaERNS_18TensorIteratorBaseEENKUlvE_clEvENKUlvE_clEvEUldE_NS0_6memory8policies10vectorizedILi4ESt5arrayIPcLm2EELi4EEEEEvT0_T1_.num_vgpr, 52
	.set .L_ZN2at6native25elementwise_kernel_helperILb0EZZZNS0_12_GLOBAL__N_121bessel_y0_kernel_cudaERNS_18TensorIteratorBaseEENKUlvE_clEvENKUlvE_clEvEUldE_NS0_6memory8policies10vectorizedILi4ESt5arrayIPcLm2EELi4EEEEEvT0_T1_.num_agpr, 0
	.set .L_ZN2at6native25elementwise_kernel_helperILb0EZZZNS0_12_GLOBAL__N_121bessel_y0_kernel_cudaERNS_18TensorIteratorBaseEENKUlvE_clEvENKUlvE_clEvEUldE_NS0_6memory8policies10vectorizedILi4ESt5arrayIPcLm2EELi4EEEEEvT0_T1_.numbered_sgpr, 44
	.set .L_ZN2at6native25elementwise_kernel_helperILb0EZZZNS0_12_GLOBAL__N_121bessel_y0_kernel_cudaERNS_18TensorIteratorBaseEENKUlvE_clEvENKUlvE_clEvEUldE_NS0_6memory8policies10vectorizedILi4ESt5arrayIPcLm2EELi4EEEEEvT0_T1_.num_named_barrier, 0
	.set .L_ZN2at6native25elementwise_kernel_helperILb0EZZZNS0_12_GLOBAL__N_121bessel_y0_kernel_cudaERNS_18TensorIteratorBaseEENKUlvE_clEvENKUlvE_clEvEUldE_NS0_6memory8policies10vectorizedILi4ESt5arrayIPcLm2EELi4EEEEEvT0_T1_.private_seg_size, 0
	.set .L_ZN2at6native25elementwise_kernel_helperILb0EZZZNS0_12_GLOBAL__N_121bessel_y0_kernel_cudaERNS_18TensorIteratorBaseEENKUlvE_clEvENKUlvE_clEvEUldE_NS0_6memory8policies10vectorizedILi4ESt5arrayIPcLm2EELi4EEEEEvT0_T1_.uses_vcc, 1
	.set .L_ZN2at6native25elementwise_kernel_helperILb0EZZZNS0_12_GLOBAL__N_121bessel_y0_kernel_cudaERNS_18TensorIteratorBaseEENKUlvE_clEvENKUlvE_clEvEUldE_NS0_6memory8policies10vectorizedILi4ESt5arrayIPcLm2EELi4EEEEEvT0_T1_.uses_flat_scratch, 0
	.set .L_ZN2at6native25elementwise_kernel_helperILb0EZZZNS0_12_GLOBAL__N_121bessel_y0_kernel_cudaERNS_18TensorIteratorBaseEENKUlvE_clEvENKUlvE_clEvEUldE_NS0_6memory8policies10vectorizedILi4ESt5arrayIPcLm2EELi4EEEEEvT0_T1_.has_dyn_sized_stack, 0
	.set .L_ZN2at6native25elementwise_kernel_helperILb0EZZZNS0_12_GLOBAL__N_121bessel_y0_kernel_cudaERNS_18TensorIteratorBaseEENKUlvE_clEvENKUlvE_clEvEUldE_NS0_6memory8policies10vectorizedILi4ESt5arrayIPcLm2EELi4EEEEEvT0_T1_.has_recursion, 0
	.set .L_ZN2at6native25elementwise_kernel_helperILb0EZZZNS0_12_GLOBAL__N_121bessel_y0_kernel_cudaERNS_18TensorIteratorBaseEENKUlvE_clEvENKUlvE_clEvEUldE_NS0_6memory8policies10vectorizedILi4ESt5arrayIPcLm2EELi4EEEEEvT0_T1_.has_indirect_call, 0
	.section	.AMDGPU.csdata,"",@progbits
; Function info:
; codeLenInByte = 22412
; TotalNumSgprs: 48
; NumVgprs: 52
; ScratchSize: 0
; MemoryBound: 0
	.section	.text._ZN2at6native29vectorized_elementwise_kernelILi16EZZZNS0_12_GLOBAL__N_121bessel_y0_kernel_cudaERNS_18TensorIteratorBaseEENKUlvE_clEvENKUlvE_clEvEUldE_St5arrayIPcLm2EEEEviT0_T1_,"axG",@progbits,_ZN2at6native29vectorized_elementwise_kernelILi16EZZZNS0_12_GLOBAL__N_121bessel_y0_kernel_cudaERNS_18TensorIteratorBaseEENKUlvE_clEvENKUlvE_clEvEUldE_St5arrayIPcLm2EEEEviT0_T1_,comdat
	.globl	_ZN2at6native29vectorized_elementwise_kernelILi16EZZZNS0_12_GLOBAL__N_121bessel_y0_kernel_cudaERNS_18TensorIteratorBaseEENKUlvE_clEvENKUlvE_clEvEUldE_St5arrayIPcLm2EEEEviT0_T1_ ; -- Begin function _ZN2at6native29vectorized_elementwise_kernelILi16EZZZNS0_12_GLOBAL__N_121bessel_y0_kernel_cudaERNS_18TensorIteratorBaseEENKUlvE_clEvENKUlvE_clEvEUldE_St5arrayIPcLm2EEEEviT0_T1_
	.p2align	8
	.type	_ZN2at6native29vectorized_elementwise_kernelILi16EZZZNS0_12_GLOBAL__N_121bessel_y0_kernel_cudaERNS_18TensorIteratorBaseEENKUlvE_clEvENKUlvE_clEvEUldE_St5arrayIPcLm2EEEEviT0_T1_,@function
_ZN2at6native29vectorized_elementwise_kernelILi16EZZZNS0_12_GLOBAL__N_121bessel_y0_kernel_cudaERNS_18TensorIteratorBaseEENKUlvE_clEvENKUlvE_clEvEUldE_St5arrayIPcLm2EEEEviT0_T1_: ; @_ZN2at6native29vectorized_elementwise_kernelILi16EZZZNS0_12_GLOBAL__N_121bessel_y0_kernel_cudaERNS_18TensorIteratorBaseEENKUlvE_clEvENKUlvE_clEvEUldE_St5arrayIPcLm2EEEEviT0_T1_
; %bb.0:
	s_mov_b32 s33, s6
	s_load_dword s6, s[4:5], 0x0
	s_load_dwordx4 s[36:39], s[4:5], 0x8
	s_add_u32 s0, s0, s7
	s_addc_u32 s1, s1, 0
	s_lshl_b32 s4, s33, 10
	s_waitcnt lgkmcnt(0)
	s_sub_i32 s34, s6, s4
	v_mov_b32_e32 v40, v0
	s_cmpk_gt_i32 s34, 0x3ff
	s_mov_b64 s[4:5], -1
	s_mov_b32 s32, 0
	s_cbranch_scc1 .LBB2_3
; %bb.1:
	s_andn2_b64 vcc, exec, s[4:5]
	s_cbranch_vccz .LBB2_4
.LBB2_2:
	s_endpgm
.LBB2_3:
	s_getpc_b64 s[4:5]
	s_add_u32 s4, s4, _ZN2at6native25elementwise_kernel_helperILb0EZZZNS0_12_GLOBAL__N_121bessel_y0_kernel_cudaERNS_18TensorIteratorBaseEENKUlvE_clEvENKUlvE_clEvEUldE_NS0_6memory8policies10vectorizedILi4ESt5arrayIPcLm2EELi4EEEEEvT0_T1_@rel32@lo+4
	s_addc_u32 s5, s5, _ZN2at6native25elementwise_kernel_helperILb0EZZZNS0_12_GLOBAL__N_121bessel_y0_kernel_cudaERNS_18TensorIteratorBaseEENKUlvE_clEvENKUlvE_clEvEUldE_NS0_6memory8policies10vectorizedILi4ESt5arrayIPcLm2EELi4EEEEEvT0_T1_@rel32@hi+12
	s_mov_b32 s12, s33
	v_mov_b32_e32 v31, v40
	v_mov_b32_e32 v0, s36
	;; [unrolled: 1-line block ×5, first 2 shown]
	s_swappc_b64 s[30:31], s[4:5]
	s_cbranch_execnz .LBB2_2
.LBB2_4:
	s_getpc_b64 s[4:5]
	s_add_u32 s4, s4, _ZN2at6native25elementwise_kernel_helperILb0EZZZNS0_12_GLOBAL__N_121bessel_y0_kernel_cudaERNS_18TensorIteratorBaseEENKUlvE_clEvENKUlvE_clEvEUldE_NS0_6memory8policies11unroll_baseILi256ESt5arrayIPcLm2EE23TrivialOffsetCalculatorILi1EjESF_NS8_15LoadWithoutCastENS8_16StoreWithoutCastELi4ELi1EEEEEvT0_T1_@rel32@lo+4
	s_addc_u32 s5, s5, _ZN2at6native25elementwise_kernel_helperILb0EZZZNS0_12_GLOBAL__N_121bessel_y0_kernel_cudaERNS_18TensorIteratorBaseEENKUlvE_clEvENKUlvE_clEvEUldE_NS0_6memory8policies11unroll_baseILi256ESt5arrayIPcLm2EE23TrivialOffsetCalculatorILi1EjESF_NS8_15LoadWithoutCastENS8_16StoreWithoutCastELi4ELi1EEEEEvT0_T1_@rel32@hi+12
	s_mov_b32 s12, s33
	v_mov_b32_e32 v31, v40
	v_mov_b32_e32 v0, s36
	v_mov_b32_e32 v1, s37
	v_mov_b32_e32 v2, s38
	v_mov_b32_e32 v3, s39
	v_mov_b32_e32 v4, s34
	s_swappc_b64 s[30:31], s[4:5]
	s_endpgm
	.section	.rodata,"a",@progbits
	.p2align	6, 0x0
	.amdhsa_kernel _ZN2at6native29vectorized_elementwise_kernelILi16EZZZNS0_12_GLOBAL__N_121bessel_y0_kernel_cudaERNS_18TensorIteratorBaseEENKUlvE_clEvENKUlvE_clEvEUldE_St5arrayIPcLm2EEEEviT0_T1_
		.amdhsa_group_segment_fixed_size 0
		.amdhsa_private_segment_fixed_size 0
		.amdhsa_kernarg_size 24
		.amdhsa_user_sgpr_count 6
		.amdhsa_user_sgpr_private_segment_buffer 1
		.amdhsa_user_sgpr_dispatch_ptr 0
		.amdhsa_user_sgpr_queue_ptr 0
		.amdhsa_user_sgpr_kernarg_segment_ptr 1
		.amdhsa_user_sgpr_dispatch_id 0
		.amdhsa_user_sgpr_flat_scratch_init 0
		.amdhsa_user_sgpr_private_segment_size 0
		.amdhsa_uses_dynamic_stack 0
		.amdhsa_system_sgpr_private_segment_wavefront_offset 0
		.amdhsa_system_sgpr_workgroup_id_x 1
		.amdhsa_system_sgpr_workgroup_id_y 0
		.amdhsa_system_sgpr_workgroup_id_z 0
		.amdhsa_system_sgpr_workgroup_info 0
		.amdhsa_system_vgpr_workitem_id 0
		.amdhsa_next_free_vgpr 82
		.amdhsa_next_free_sgpr 48
		.amdhsa_reserve_vcc 1
		.amdhsa_reserve_flat_scratch 0
		.amdhsa_float_round_mode_32 0
		.amdhsa_float_round_mode_16_64 0
		.amdhsa_float_denorm_mode_32 3
		.amdhsa_float_denorm_mode_16_64 3
		.amdhsa_dx10_clamp 1
		.amdhsa_ieee_mode 1
		.amdhsa_fp16_overflow 0
		.amdhsa_exception_fp_ieee_invalid_op 0
		.amdhsa_exception_fp_denorm_src 0
		.amdhsa_exception_fp_ieee_div_zero 0
		.amdhsa_exception_fp_ieee_overflow 0
		.amdhsa_exception_fp_ieee_underflow 0
		.amdhsa_exception_fp_ieee_inexact 0
		.amdhsa_exception_int_div_zero 0
	.end_amdhsa_kernel
	.section	.text._ZN2at6native29vectorized_elementwise_kernelILi16EZZZNS0_12_GLOBAL__N_121bessel_y0_kernel_cudaERNS_18TensorIteratorBaseEENKUlvE_clEvENKUlvE_clEvEUldE_St5arrayIPcLm2EEEEviT0_T1_,"axG",@progbits,_ZN2at6native29vectorized_elementwise_kernelILi16EZZZNS0_12_GLOBAL__N_121bessel_y0_kernel_cudaERNS_18TensorIteratorBaseEENKUlvE_clEvENKUlvE_clEvEUldE_St5arrayIPcLm2EEEEviT0_T1_,comdat
.Lfunc_end2:
	.size	_ZN2at6native29vectorized_elementwise_kernelILi16EZZZNS0_12_GLOBAL__N_121bessel_y0_kernel_cudaERNS_18TensorIteratorBaseEENKUlvE_clEvENKUlvE_clEvEUldE_St5arrayIPcLm2EEEEviT0_T1_, .Lfunc_end2-_ZN2at6native29vectorized_elementwise_kernelILi16EZZZNS0_12_GLOBAL__N_121bessel_y0_kernel_cudaERNS_18TensorIteratorBaseEENKUlvE_clEvENKUlvE_clEvEUldE_St5arrayIPcLm2EEEEviT0_T1_
                                        ; -- End function
	.set _ZN2at6native29vectorized_elementwise_kernelILi16EZZZNS0_12_GLOBAL__N_121bessel_y0_kernel_cudaERNS_18TensorIteratorBaseEENKUlvE_clEvENKUlvE_clEvEUldE_St5arrayIPcLm2EEEEviT0_T1_.num_vgpr, max(41, .L_ZN2at6native25elementwise_kernel_helperILb0EZZZNS0_12_GLOBAL__N_121bessel_y0_kernel_cudaERNS_18TensorIteratorBaseEENKUlvE_clEvENKUlvE_clEvEUldE_NS0_6memory8policies10vectorizedILi4ESt5arrayIPcLm2EELi4EEEEEvT0_T1_.num_vgpr, .L_ZN2at6native25elementwise_kernel_helperILb0EZZZNS0_12_GLOBAL__N_121bessel_y0_kernel_cudaERNS_18TensorIteratorBaseEENKUlvE_clEvENKUlvE_clEvEUldE_NS0_6memory8policies11unroll_baseILi256ESt5arrayIPcLm2EE23TrivialOffsetCalculatorILi1EjESF_NS8_15LoadWithoutCastENS8_16StoreWithoutCastELi4ELi1EEEEEvT0_T1_.num_vgpr)
	.set _ZN2at6native29vectorized_elementwise_kernelILi16EZZZNS0_12_GLOBAL__N_121bessel_y0_kernel_cudaERNS_18TensorIteratorBaseEENKUlvE_clEvENKUlvE_clEvEUldE_St5arrayIPcLm2EEEEviT0_T1_.num_agpr, max(0, .L_ZN2at6native25elementwise_kernel_helperILb0EZZZNS0_12_GLOBAL__N_121bessel_y0_kernel_cudaERNS_18TensorIteratorBaseEENKUlvE_clEvENKUlvE_clEvEUldE_NS0_6memory8policies10vectorizedILi4ESt5arrayIPcLm2EELi4EEEEEvT0_T1_.num_agpr, .L_ZN2at6native25elementwise_kernel_helperILb0EZZZNS0_12_GLOBAL__N_121bessel_y0_kernel_cudaERNS_18TensorIteratorBaseEENKUlvE_clEvENKUlvE_clEvEUldE_NS0_6memory8policies11unroll_baseILi256ESt5arrayIPcLm2EE23TrivialOffsetCalculatorILi1EjESF_NS8_15LoadWithoutCastENS8_16StoreWithoutCastELi4ELi1EEEEEvT0_T1_.num_agpr)
	.set _ZN2at6native29vectorized_elementwise_kernelILi16EZZZNS0_12_GLOBAL__N_121bessel_y0_kernel_cudaERNS_18TensorIteratorBaseEENKUlvE_clEvENKUlvE_clEvEUldE_St5arrayIPcLm2EEEEviT0_T1_.numbered_sgpr, max(40, .L_ZN2at6native25elementwise_kernel_helperILb0EZZZNS0_12_GLOBAL__N_121bessel_y0_kernel_cudaERNS_18TensorIteratorBaseEENKUlvE_clEvENKUlvE_clEvEUldE_NS0_6memory8policies10vectorizedILi4ESt5arrayIPcLm2EELi4EEEEEvT0_T1_.numbered_sgpr, .L_ZN2at6native25elementwise_kernel_helperILb0EZZZNS0_12_GLOBAL__N_121bessel_y0_kernel_cudaERNS_18TensorIteratorBaseEENKUlvE_clEvENKUlvE_clEvEUldE_NS0_6memory8policies11unroll_baseILi256ESt5arrayIPcLm2EE23TrivialOffsetCalculatorILi1EjESF_NS8_15LoadWithoutCastENS8_16StoreWithoutCastELi4ELi1EEEEEvT0_T1_.numbered_sgpr)
	.set _ZN2at6native29vectorized_elementwise_kernelILi16EZZZNS0_12_GLOBAL__N_121bessel_y0_kernel_cudaERNS_18TensorIteratorBaseEENKUlvE_clEvENKUlvE_clEvEUldE_St5arrayIPcLm2EEEEviT0_T1_.num_named_barrier, max(0, .L_ZN2at6native25elementwise_kernel_helperILb0EZZZNS0_12_GLOBAL__N_121bessel_y0_kernel_cudaERNS_18TensorIteratorBaseEENKUlvE_clEvENKUlvE_clEvEUldE_NS0_6memory8policies10vectorizedILi4ESt5arrayIPcLm2EELi4EEEEEvT0_T1_.num_named_barrier, .L_ZN2at6native25elementwise_kernel_helperILb0EZZZNS0_12_GLOBAL__N_121bessel_y0_kernel_cudaERNS_18TensorIteratorBaseEENKUlvE_clEvENKUlvE_clEvEUldE_NS0_6memory8policies11unroll_baseILi256ESt5arrayIPcLm2EE23TrivialOffsetCalculatorILi1EjESF_NS8_15LoadWithoutCastENS8_16StoreWithoutCastELi4ELi1EEEEEvT0_T1_.num_named_barrier)
	.set _ZN2at6native29vectorized_elementwise_kernelILi16EZZZNS0_12_GLOBAL__N_121bessel_y0_kernel_cudaERNS_18TensorIteratorBaseEENKUlvE_clEvENKUlvE_clEvEUldE_St5arrayIPcLm2EEEEviT0_T1_.private_seg_size, 0+max(.L_ZN2at6native25elementwise_kernel_helperILb0EZZZNS0_12_GLOBAL__N_121bessel_y0_kernel_cudaERNS_18TensorIteratorBaseEENKUlvE_clEvENKUlvE_clEvEUldE_NS0_6memory8policies10vectorizedILi4ESt5arrayIPcLm2EELi4EEEEEvT0_T1_.private_seg_size, .L_ZN2at6native25elementwise_kernel_helperILb0EZZZNS0_12_GLOBAL__N_121bessel_y0_kernel_cudaERNS_18TensorIteratorBaseEENKUlvE_clEvENKUlvE_clEvEUldE_NS0_6memory8policies11unroll_baseILi256ESt5arrayIPcLm2EE23TrivialOffsetCalculatorILi1EjESF_NS8_15LoadWithoutCastENS8_16StoreWithoutCastELi4ELi1EEEEEvT0_T1_.private_seg_size)
	.set _ZN2at6native29vectorized_elementwise_kernelILi16EZZZNS0_12_GLOBAL__N_121bessel_y0_kernel_cudaERNS_18TensorIteratorBaseEENKUlvE_clEvENKUlvE_clEvEUldE_St5arrayIPcLm2EEEEviT0_T1_.uses_vcc, or(1, .L_ZN2at6native25elementwise_kernel_helperILb0EZZZNS0_12_GLOBAL__N_121bessel_y0_kernel_cudaERNS_18TensorIteratorBaseEENKUlvE_clEvENKUlvE_clEvEUldE_NS0_6memory8policies10vectorizedILi4ESt5arrayIPcLm2EELi4EEEEEvT0_T1_.uses_vcc, .L_ZN2at6native25elementwise_kernel_helperILb0EZZZNS0_12_GLOBAL__N_121bessel_y0_kernel_cudaERNS_18TensorIteratorBaseEENKUlvE_clEvENKUlvE_clEvEUldE_NS0_6memory8policies11unroll_baseILi256ESt5arrayIPcLm2EE23TrivialOffsetCalculatorILi1EjESF_NS8_15LoadWithoutCastENS8_16StoreWithoutCastELi4ELi1EEEEEvT0_T1_.uses_vcc)
	.set _ZN2at6native29vectorized_elementwise_kernelILi16EZZZNS0_12_GLOBAL__N_121bessel_y0_kernel_cudaERNS_18TensorIteratorBaseEENKUlvE_clEvENKUlvE_clEvEUldE_St5arrayIPcLm2EEEEviT0_T1_.uses_flat_scratch, or(0, .L_ZN2at6native25elementwise_kernel_helperILb0EZZZNS0_12_GLOBAL__N_121bessel_y0_kernel_cudaERNS_18TensorIteratorBaseEENKUlvE_clEvENKUlvE_clEvEUldE_NS0_6memory8policies10vectorizedILi4ESt5arrayIPcLm2EELi4EEEEEvT0_T1_.uses_flat_scratch, .L_ZN2at6native25elementwise_kernel_helperILb0EZZZNS0_12_GLOBAL__N_121bessel_y0_kernel_cudaERNS_18TensorIteratorBaseEENKUlvE_clEvENKUlvE_clEvEUldE_NS0_6memory8policies11unroll_baseILi256ESt5arrayIPcLm2EE23TrivialOffsetCalculatorILi1EjESF_NS8_15LoadWithoutCastENS8_16StoreWithoutCastELi4ELi1EEEEEvT0_T1_.uses_flat_scratch)
	.set _ZN2at6native29vectorized_elementwise_kernelILi16EZZZNS0_12_GLOBAL__N_121bessel_y0_kernel_cudaERNS_18TensorIteratorBaseEENKUlvE_clEvENKUlvE_clEvEUldE_St5arrayIPcLm2EEEEviT0_T1_.has_dyn_sized_stack, or(0, .L_ZN2at6native25elementwise_kernel_helperILb0EZZZNS0_12_GLOBAL__N_121bessel_y0_kernel_cudaERNS_18TensorIteratorBaseEENKUlvE_clEvENKUlvE_clEvEUldE_NS0_6memory8policies10vectorizedILi4ESt5arrayIPcLm2EELi4EEEEEvT0_T1_.has_dyn_sized_stack, .L_ZN2at6native25elementwise_kernel_helperILb0EZZZNS0_12_GLOBAL__N_121bessel_y0_kernel_cudaERNS_18TensorIteratorBaseEENKUlvE_clEvENKUlvE_clEvEUldE_NS0_6memory8policies11unroll_baseILi256ESt5arrayIPcLm2EE23TrivialOffsetCalculatorILi1EjESF_NS8_15LoadWithoutCastENS8_16StoreWithoutCastELi4ELi1EEEEEvT0_T1_.has_dyn_sized_stack)
	.set _ZN2at6native29vectorized_elementwise_kernelILi16EZZZNS0_12_GLOBAL__N_121bessel_y0_kernel_cudaERNS_18TensorIteratorBaseEENKUlvE_clEvENKUlvE_clEvEUldE_St5arrayIPcLm2EEEEviT0_T1_.has_recursion, or(0, .L_ZN2at6native25elementwise_kernel_helperILb0EZZZNS0_12_GLOBAL__N_121bessel_y0_kernel_cudaERNS_18TensorIteratorBaseEENKUlvE_clEvENKUlvE_clEvEUldE_NS0_6memory8policies10vectorizedILi4ESt5arrayIPcLm2EELi4EEEEEvT0_T1_.has_recursion, .L_ZN2at6native25elementwise_kernel_helperILb0EZZZNS0_12_GLOBAL__N_121bessel_y0_kernel_cudaERNS_18TensorIteratorBaseEENKUlvE_clEvENKUlvE_clEvEUldE_NS0_6memory8policies11unroll_baseILi256ESt5arrayIPcLm2EE23TrivialOffsetCalculatorILi1EjESF_NS8_15LoadWithoutCastENS8_16StoreWithoutCastELi4ELi1EEEEEvT0_T1_.has_recursion)
	.set _ZN2at6native29vectorized_elementwise_kernelILi16EZZZNS0_12_GLOBAL__N_121bessel_y0_kernel_cudaERNS_18TensorIteratorBaseEENKUlvE_clEvENKUlvE_clEvEUldE_St5arrayIPcLm2EEEEviT0_T1_.has_indirect_call, or(0, .L_ZN2at6native25elementwise_kernel_helperILb0EZZZNS0_12_GLOBAL__N_121bessel_y0_kernel_cudaERNS_18TensorIteratorBaseEENKUlvE_clEvENKUlvE_clEvEUldE_NS0_6memory8policies10vectorizedILi4ESt5arrayIPcLm2EELi4EEEEEvT0_T1_.has_indirect_call, .L_ZN2at6native25elementwise_kernel_helperILb0EZZZNS0_12_GLOBAL__N_121bessel_y0_kernel_cudaERNS_18TensorIteratorBaseEENKUlvE_clEvENKUlvE_clEvEUldE_NS0_6memory8policies11unroll_baseILi256ESt5arrayIPcLm2EE23TrivialOffsetCalculatorILi1EjESF_NS8_15LoadWithoutCastENS8_16StoreWithoutCastELi4ELi1EEEEEvT0_T1_.has_indirect_call)
	.section	.AMDGPU.csdata,"",@progbits
; Kernel info:
; codeLenInByte = 180
; TotalNumSgprs: 52
; NumVgprs: 82
; ScratchSize: 0
; MemoryBound: 0
; FloatMode: 240
; IeeeMode: 1
; LDSByteSize: 0 bytes/workgroup (compile time only)
; SGPRBlocks: 6
; VGPRBlocks: 20
; NumSGPRsForWavesPerEU: 52
; NumVGPRsForWavesPerEU: 82
; Occupancy: 3
; WaveLimiterHint : 0
; COMPUTE_PGM_RSRC2:SCRATCH_EN: 0
; COMPUTE_PGM_RSRC2:USER_SGPR: 6
; COMPUTE_PGM_RSRC2:TRAP_HANDLER: 0
; COMPUTE_PGM_RSRC2:TGID_X_EN: 1
; COMPUTE_PGM_RSRC2:TGID_Y_EN: 0
; COMPUTE_PGM_RSRC2:TGID_Z_EN: 0
; COMPUTE_PGM_RSRC2:TIDIG_COMP_CNT: 0
	.section	.text._ZN2at6native29vectorized_elementwise_kernelILi8EZZZNS0_12_GLOBAL__N_121bessel_y0_kernel_cudaERNS_18TensorIteratorBaseEENKUlvE_clEvENKUlvE_clEvEUldE_St5arrayIPcLm2EEEEviT0_T1_,"axG",@progbits,_ZN2at6native29vectorized_elementwise_kernelILi8EZZZNS0_12_GLOBAL__N_121bessel_y0_kernel_cudaERNS_18TensorIteratorBaseEENKUlvE_clEvENKUlvE_clEvEUldE_St5arrayIPcLm2EEEEviT0_T1_,comdat
	.globl	_ZN2at6native29vectorized_elementwise_kernelILi8EZZZNS0_12_GLOBAL__N_121bessel_y0_kernel_cudaERNS_18TensorIteratorBaseEENKUlvE_clEvENKUlvE_clEvEUldE_St5arrayIPcLm2EEEEviT0_T1_ ; -- Begin function _ZN2at6native29vectorized_elementwise_kernelILi8EZZZNS0_12_GLOBAL__N_121bessel_y0_kernel_cudaERNS_18TensorIteratorBaseEENKUlvE_clEvENKUlvE_clEvEUldE_St5arrayIPcLm2EEEEviT0_T1_
	.p2align	8
	.type	_ZN2at6native29vectorized_elementwise_kernelILi8EZZZNS0_12_GLOBAL__N_121bessel_y0_kernel_cudaERNS_18TensorIteratorBaseEENKUlvE_clEvENKUlvE_clEvEUldE_St5arrayIPcLm2EEEEviT0_T1_,@function
_ZN2at6native29vectorized_elementwise_kernelILi8EZZZNS0_12_GLOBAL__N_121bessel_y0_kernel_cudaERNS_18TensorIteratorBaseEENKUlvE_clEvENKUlvE_clEvEUldE_St5arrayIPcLm2EEEEviT0_T1_: ; @_ZN2at6native29vectorized_elementwise_kernelILi8EZZZNS0_12_GLOBAL__N_121bessel_y0_kernel_cudaERNS_18TensorIteratorBaseEENKUlvE_clEvENKUlvE_clEvEUldE_St5arrayIPcLm2EEEEviT0_T1_
; %bb.0:
	s_mov_b32 s33, s6
	s_load_dword s6, s[4:5], 0x0
	s_load_dwordx4 s[36:39], s[4:5], 0x8
	s_add_u32 s0, s0, s7
	s_addc_u32 s1, s1, 0
	s_lshl_b32 s4, s33, 10
	s_waitcnt lgkmcnt(0)
	s_sub_i32 s34, s6, s4
	v_mov_b32_e32 v40, v0
	s_cmpk_gt_i32 s34, 0x3ff
	s_mov_b64 s[4:5], -1
	s_mov_b32 s32, 0
	s_cbranch_scc1 .LBB3_3
; %bb.1:
	s_andn2_b64 vcc, exec, s[4:5]
	s_cbranch_vccz .LBB3_4
.LBB3_2:
	s_endpgm
.LBB3_3:
	s_getpc_b64 s[4:5]
	s_add_u32 s4, s4, _ZN2at6native25elementwise_kernel_helperILb0EZZZNS0_12_GLOBAL__N_121bessel_y0_kernel_cudaERNS_18TensorIteratorBaseEENKUlvE_clEvENKUlvE_clEvEUldE_NS0_6memory8policies10vectorizedILi4ESt5arrayIPcLm2EELi4EEEEEvT0_T1_@rel32@lo+4
	s_addc_u32 s5, s5, _ZN2at6native25elementwise_kernel_helperILb0EZZZNS0_12_GLOBAL__N_121bessel_y0_kernel_cudaERNS_18TensorIteratorBaseEENKUlvE_clEvENKUlvE_clEvEUldE_NS0_6memory8policies10vectorizedILi4ESt5arrayIPcLm2EELi4EEEEEvT0_T1_@rel32@hi+12
	s_mov_b32 s12, s33
	v_mov_b32_e32 v31, v40
	v_mov_b32_e32 v0, s36
	;; [unrolled: 1-line block ×5, first 2 shown]
	s_swappc_b64 s[30:31], s[4:5]
	s_cbranch_execnz .LBB3_2
.LBB3_4:
	s_getpc_b64 s[4:5]
	s_add_u32 s4, s4, _ZN2at6native25elementwise_kernel_helperILb0EZZZNS0_12_GLOBAL__N_121bessel_y0_kernel_cudaERNS_18TensorIteratorBaseEENKUlvE_clEvENKUlvE_clEvEUldE_NS0_6memory8policies11unroll_baseILi256ESt5arrayIPcLm2EE23TrivialOffsetCalculatorILi1EjESF_NS8_15LoadWithoutCastENS8_16StoreWithoutCastELi4ELi1EEEEEvT0_T1_@rel32@lo+4
	s_addc_u32 s5, s5, _ZN2at6native25elementwise_kernel_helperILb0EZZZNS0_12_GLOBAL__N_121bessel_y0_kernel_cudaERNS_18TensorIteratorBaseEENKUlvE_clEvENKUlvE_clEvEUldE_NS0_6memory8policies11unroll_baseILi256ESt5arrayIPcLm2EE23TrivialOffsetCalculatorILi1EjESF_NS8_15LoadWithoutCastENS8_16StoreWithoutCastELi4ELi1EEEEEvT0_T1_@rel32@hi+12
	s_mov_b32 s12, s33
	v_mov_b32_e32 v31, v40
	v_mov_b32_e32 v0, s36
	;; [unrolled: 1-line block ×6, first 2 shown]
	s_swappc_b64 s[30:31], s[4:5]
	s_endpgm
	.section	.rodata,"a",@progbits
	.p2align	6, 0x0
	.amdhsa_kernel _ZN2at6native29vectorized_elementwise_kernelILi8EZZZNS0_12_GLOBAL__N_121bessel_y0_kernel_cudaERNS_18TensorIteratorBaseEENKUlvE_clEvENKUlvE_clEvEUldE_St5arrayIPcLm2EEEEviT0_T1_
		.amdhsa_group_segment_fixed_size 0
		.amdhsa_private_segment_fixed_size 0
		.amdhsa_kernarg_size 24
		.amdhsa_user_sgpr_count 6
		.amdhsa_user_sgpr_private_segment_buffer 1
		.amdhsa_user_sgpr_dispatch_ptr 0
		.amdhsa_user_sgpr_queue_ptr 0
		.amdhsa_user_sgpr_kernarg_segment_ptr 1
		.amdhsa_user_sgpr_dispatch_id 0
		.amdhsa_user_sgpr_flat_scratch_init 0
		.amdhsa_user_sgpr_private_segment_size 0
		.amdhsa_uses_dynamic_stack 0
		.amdhsa_system_sgpr_private_segment_wavefront_offset 0
		.amdhsa_system_sgpr_workgroup_id_x 1
		.amdhsa_system_sgpr_workgroup_id_y 0
		.amdhsa_system_sgpr_workgroup_id_z 0
		.amdhsa_system_sgpr_workgroup_info 0
		.amdhsa_system_vgpr_workitem_id 0
		.amdhsa_next_free_vgpr 82
		.amdhsa_next_free_sgpr 48
		.amdhsa_reserve_vcc 1
		.amdhsa_reserve_flat_scratch 0
		.amdhsa_float_round_mode_32 0
		.amdhsa_float_round_mode_16_64 0
		.amdhsa_float_denorm_mode_32 3
		.amdhsa_float_denorm_mode_16_64 3
		.amdhsa_dx10_clamp 1
		.amdhsa_ieee_mode 1
		.amdhsa_fp16_overflow 0
		.amdhsa_exception_fp_ieee_invalid_op 0
		.amdhsa_exception_fp_denorm_src 0
		.amdhsa_exception_fp_ieee_div_zero 0
		.amdhsa_exception_fp_ieee_overflow 0
		.amdhsa_exception_fp_ieee_underflow 0
		.amdhsa_exception_fp_ieee_inexact 0
		.amdhsa_exception_int_div_zero 0
	.end_amdhsa_kernel
	.section	.text._ZN2at6native29vectorized_elementwise_kernelILi8EZZZNS0_12_GLOBAL__N_121bessel_y0_kernel_cudaERNS_18TensorIteratorBaseEENKUlvE_clEvENKUlvE_clEvEUldE_St5arrayIPcLm2EEEEviT0_T1_,"axG",@progbits,_ZN2at6native29vectorized_elementwise_kernelILi8EZZZNS0_12_GLOBAL__N_121bessel_y0_kernel_cudaERNS_18TensorIteratorBaseEENKUlvE_clEvENKUlvE_clEvEUldE_St5arrayIPcLm2EEEEviT0_T1_,comdat
.Lfunc_end3:
	.size	_ZN2at6native29vectorized_elementwise_kernelILi8EZZZNS0_12_GLOBAL__N_121bessel_y0_kernel_cudaERNS_18TensorIteratorBaseEENKUlvE_clEvENKUlvE_clEvEUldE_St5arrayIPcLm2EEEEviT0_T1_, .Lfunc_end3-_ZN2at6native29vectorized_elementwise_kernelILi8EZZZNS0_12_GLOBAL__N_121bessel_y0_kernel_cudaERNS_18TensorIteratorBaseEENKUlvE_clEvENKUlvE_clEvEUldE_St5arrayIPcLm2EEEEviT0_T1_
                                        ; -- End function
	.set _ZN2at6native29vectorized_elementwise_kernelILi8EZZZNS0_12_GLOBAL__N_121bessel_y0_kernel_cudaERNS_18TensorIteratorBaseEENKUlvE_clEvENKUlvE_clEvEUldE_St5arrayIPcLm2EEEEviT0_T1_.num_vgpr, max(41, .L_ZN2at6native25elementwise_kernel_helperILb0EZZZNS0_12_GLOBAL__N_121bessel_y0_kernel_cudaERNS_18TensorIteratorBaseEENKUlvE_clEvENKUlvE_clEvEUldE_NS0_6memory8policies10vectorizedILi4ESt5arrayIPcLm2EELi4EEEEEvT0_T1_.num_vgpr, .L_ZN2at6native25elementwise_kernel_helperILb0EZZZNS0_12_GLOBAL__N_121bessel_y0_kernel_cudaERNS_18TensorIteratorBaseEENKUlvE_clEvENKUlvE_clEvEUldE_NS0_6memory8policies11unroll_baseILi256ESt5arrayIPcLm2EE23TrivialOffsetCalculatorILi1EjESF_NS8_15LoadWithoutCastENS8_16StoreWithoutCastELi4ELi1EEEEEvT0_T1_.num_vgpr)
	.set _ZN2at6native29vectorized_elementwise_kernelILi8EZZZNS0_12_GLOBAL__N_121bessel_y0_kernel_cudaERNS_18TensorIteratorBaseEENKUlvE_clEvENKUlvE_clEvEUldE_St5arrayIPcLm2EEEEviT0_T1_.num_agpr, max(0, .L_ZN2at6native25elementwise_kernel_helperILb0EZZZNS0_12_GLOBAL__N_121bessel_y0_kernel_cudaERNS_18TensorIteratorBaseEENKUlvE_clEvENKUlvE_clEvEUldE_NS0_6memory8policies10vectorizedILi4ESt5arrayIPcLm2EELi4EEEEEvT0_T1_.num_agpr, .L_ZN2at6native25elementwise_kernel_helperILb0EZZZNS0_12_GLOBAL__N_121bessel_y0_kernel_cudaERNS_18TensorIteratorBaseEENKUlvE_clEvENKUlvE_clEvEUldE_NS0_6memory8policies11unroll_baseILi256ESt5arrayIPcLm2EE23TrivialOffsetCalculatorILi1EjESF_NS8_15LoadWithoutCastENS8_16StoreWithoutCastELi4ELi1EEEEEvT0_T1_.num_agpr)
	.set _ZN2at6native29vectorized_elementwise_kernelILi8EZZZNS0_12_GLOBAL__N_121bessel_y0_kernel_cudaERNS_18TensorIteratorBaseEENKUlvE_clEvENKUlvE_clEvEUldE_St5arrayIPcLm2EEEEviT0_T1_.numbered_sgpr, max(40, .L_ZN2at6native25elementwise_kernel_helperILb0EZZZNS0_12_GLOBAL__N_121bessel_y0_kernel_cudaERNS_18TensorIteratorBaseEENKUlvE_clEvENKUlvE_clEvEUldE_NS0_6memory8policies10vectorizedILi4ESt5arrayIPcLm2EELi4EEEEEvT0_T1_.numbered_sgpr, .L_ZN2at6native25elementwise_kernel_helperILb0EZZZNS0_12_GLOBAL__N_121bessel_y0_kernel_cudaERNS_18TensorIteratorBaseEENKUlvE_clEvENKUlvE_clEvEUldE_NS0_6memory8policies11unroll_baseILi256ESt5arrayIPcLm2EE23TrivialOffsetCalculatorILi1EjESF_NS8_15LoadWithoutCastENS8_16StoreWithoutCastELi4ELi1EEEEEvT0_T1_.numbered_sgpr)
	.set _ZN2at6native29vectorized_elementwise_kernelILi8EZZZNS0_12_GLOBAL__N_121bessel_y0_kernel_cudaERNS_18TensorIteratorBaseEENKUlvE_clEvENKUlvE_clEvEUldE_St5arrayIPcLm2EEEEviT0_T1_.num_named_barrier, max(0, .L_ZN2at6native25elementwise_kernel_helperILb0EZZZNS0_12_GLOBAL__N_121bessel_y0_kernel_cudaERNS_18TensorIteratorBaseEENKUlvE_clEvENKUlvE_clEvEUldE_NS0_6memory8policies10vectorizedILi4ESt5arrayIPcLm2EELi4EEEEEvT0_T1_.num_named_barrier, .L_ZN2at6native25elementwise_kernel_helperILb0EZZZNS0_12_GLOBAL__N_121bessel_y0_kernel_cudaERNS_18TensorIteratorBaseEENKUlvE_clEvENKUlvE_clEvEUldE_NS0_6memory8policies11unroll_baseILi256ESt5arrayIPcLm2EE23TrivialOffsetCalculatorILi1EjESF_NS8_15LoadWithoutCastENS8_16StoreWithoutCastELi4ELi1EEEEEvT0_T1_.num_named_barrier)
	.set _ZN2at6native29vectorized_elementwise_kernelILi8EZZZNS0_12_GLOBAL__N_121bessel_y0_kernel_cudaERNS_18TensorIteratorBaseEENKUlvE_clEvENKUlvE_clEvEUldE_St5arrayIPcLm2EEEEviT0_T1_.private_seg_size, 0+max(.L_ZN2at6native25elementwise_kernel_helperILb0EZZZNS0_12_GLOBAL__N_121bessel_y0_kernel_cudaERNS_18TensorIteratorBaseEENKUlvE_clEvENKUlvE_clEvEUldE_NS0_6memory8policies10vectorizedILi4ESt5arrayIPcLm2EELi4EEEEEvT0_T1_.private_seg_size, .L_ZN2at6native25elementwise_kernel_helperILb0EZZZNS0_12_GLOBAL__N_121bessel_y0_kernel_cudaERNS_18TensorIteratorBaseEENKUlvE_clEvENKUlvE_clEvEUldE_NS0_6memory8policies11unroll_baseILi256ESt5arrayIPcLm2EE23TrivialOffsetCalculatorILi1EjESF_NS8_15LoadWithoutCastENS8_16StoreWithoutCastELi4ELi1EEEEEvT0_T1_.private_seg_size)
	.set _ZN2at6native29vectorized_elementwise_kernelILi8EZZZNS0_12_GLOBAL__N_121bessel_y0_kernel_cudaERNS_18TensorIteratorBaseEENKUlvE_clEvENKUlvE_clEvEUldE_St5arrayIPcLm2EEEEviT0_T1_.uses_vcc, or(1, .L_ZN2at6native25elementwise_kernel_helperILb0EZZZNS0_12_GLOBAL__N_121bessel_y0_kernel_cudaERNS_18TensorIteratorBaseEENKUlvE_clEvENKUlvE_clEvEUldE_NS0_6memory8policies10vectorizedILi4ESt5arrayIPcLm2EELi4EEEEEvT0_T1_.uses_vcc, .L_ZN2at6native25elementwise_kernel_helperILb0EZZZNS0_12_GLOBAL__N_121bessel_y0_kernel_cudaERNS_18TensorIteratorBaseEENKUlvE_clEvENKUlvE_clEvEUldE_NS0_6memory8policies11unroll_baseILi256ESt5arrayIPcLm2EE23TrivialOffsetCalculatorILi1EjESF_NS8_15LoadWithoutCastENS8_16StoreWithoutCastELi4ELi1EEEEEvT0_T1_.uses_vcc)
	.set _ZN2at6native29vectorized_elementwise_kernelILi8EZZZNS0_12_GLOBAL__N_121bessel_y0_kernel_cudaERNS_18TensorIteratorBaseEENKUlvE_clEvENKUlvE_clEvEUldE_St5arrayIPcLm2EEEEviT0_T1_.uses_flat_scratch, or(0, .L_ZN2at6native25elementwise_kernel_helperILb0EZZZNS0_12_GLOBAL__N_121bessel_y0_kernel_cudaERNS_18TensorIteratorBaseEENKUlvE_clEvENKUlvE_clEvEUldE_NS0_6memory8policies10vectorizedILi4ESt5arrayIPcLm2EELi4EEEEEvT0_T1_.uses_flat_scratch, .L_ZN2at6native25elementwise_kernel_helperILb0EZZZNS0_12_GLOBAL__N_121bessel_y0_kernel_cudaERNS_18TensorIteratorBaseEENKUlvE_clEvENKUlvE_clEvEUldE_NS0_6memory8policies11unroll_baseILi256ESt5arrayIPcLm2EE23TrivialOffsetCalculatorILi1EjESF_NS8_15LoadWithoutCastENS8_16StoreWithoutCastELi4ELi1EEEEEvT0_T1_.uses_flat_scratch)
	.set _ZN2at6native29vectorized_elementwise_kernelILi8EZZZNS0_12_GLOBAL__N_121bessel_y0_kernel_cudaERNS_18TensorIteratorBaseEENKUlvE_clEvENKUlvE_clEvEUldE_St5arrayIPcLm2EEEEviT0_T1_.has_dyn_sized_stack, or(0, .L_ZN2at6native25elementwise_kernel_helperILb0EZZZNS0_12_GLOBAL__N_121bessel_y0_kernel_cudaERNS_18TensorIteratorBaseEENKUlvE_clEvENKUlvE_clEvEUldE_NS0_6memory8policies10vectorizedILi4ESt5arrayIPcLm2EELi4EEEEEvT0_T1_.has_dyn_sized_stack, .L_ZN2at6native25elementwise_kernel_helperILb0EZZZNS0_12_GLOBAL__N_121bessel_y0_kernel_cudaERNS_18TensorIteratorBaseEENKUlvE_clEvENKUlvE_clEvEUldE_NS0_6memory8policies11unroll_baseILi256ESt5arrayIPcLm2EE23TrivialOffsetCalculatorILi1EjESF_NS8_15LoadWithoutCastENS8_16StoreWithoutCastELi4ELi1EEEEEvT0_T1_.has_dyn_sized_stack)
	.set _ZN2at6native29vectorized_elementwise_kernelILi8EZZZNS0_12_GLOBAL__N_121bessel_y0_kernel_cudaERNS_18TensorIteratorBaseEENKUlvE_clEvENKUlvE_clEvEUldE_St5arrayIPcLm2EEEEviT0_T1_.has_recursion, or(0, .L_ZN2at6native25elementwise_kernel_helperILb0EZZZNS0_12_GLOBAL__N_121bessel_y0_kernel_cudaERNS_18TensorIteratorBaseEENKUlvE_clEvENKUlvE_clEvEUldE_NS0_6memory8policies10vectorizedILi4ESt5arrayIPcLm2EELi4EEEEEvT0_T1_.has_recursion, .L_ZN2at6native25elementwise_kernel_helperILb0EZZZNS0_12_GLOBAL__N_121bessel_y0_kernel_cudaERNS_18TensorIteratorBaseEENKUlvE_clEvENKUlvE_clEvEUldE_NS0_6memory8policies11unroll_baseILi256ESt5arrayIPcLm2EE23TrivialOffsetCalculatorILi1EjESF_NS8_15LoadWithoutCastENS8_16StoreWithoutCastELi4ELi1EEEEEvT0_T1_.has_recursion)
	.set _ZN2at6native29vectorized_elementwise_kernelILi8EZZZNS0_12_GLOBAL__N_121bessel_y0_kernel_cudaERNS_18TensorIteratorBaseEENKUlvE_clEvENKUlvE_clEvEUldE_St5arrayIPcLm2EEEEviT0_T1_.has_indirect_call, or(0, .L_ZN2at6native25elementwise_kernel_helperILb0EZZZNS0_12_GLOBAL__N_121bessel_y0_kernel_cudaERNS_18TensorIteratorBaseEENKUlvE_clEvENKUlvE_clEvEUldE_NS0_6memory8policies10vectorizedILi4ESt5arrayIPcLm2EELi4EEEEEvT0_T1_.has_indirect_call, .L_ZN2at6native25elementwise_kernel_helperILb0EZZZNS0_12_GLOBAL__N_121bessel_y0_kernel_cudaERNS_18TensorIteratorBaseEENKUlvE_clEvENKUlvE_clEvEUldE_NS0_6memory8policies11unroll_baseILi256ESt5arrayIPcLm2EE23TrivialOffsetCalculatorILi1EjESF_NS8_15LoadWithoutCastENS8_16StoreWithoutCastELi4ELi1EEEEEvT0_T1_.has_indirect_call)
	.section	.AMDGPU.csdata,"",@progbits
; Kernel info:
; codeLenInByte = 180
; TotalNumSgprs: 52
; NumVgprs: 82
; ScratchSize: 0
; MemoryBound: 0
; FloatMode: 240
; IeeeMode: 1
; LDSByteSize: 0 bytes/workgroup (compile time only)
; SGPRBlocks: 6
; VGPRBlocks: 20
; NumSGPRsForWavesPerEU: 52
; NumVGPRsForWavesPerEU: 82
; Occupancy: 3
; WaveLimiterHint : 0
; COMPUTE_PGM_RSRC2:SCRATCH_EN: 0
; COMPUTE_PGM_RSRC2:USER_SGPR: 6
; COMPUTE_PGM_RSRC2:TRAP_HANDLER: 0
; COMPUTE_PGM_RSRC2:TGID_X_EN: 1
; COMPUTE_PGM_RSRC2:TGID_Y_EN: 0
; COMPUTE_PGM_RSRC2:TGID_Z_EN: 0
; COMPUTE_PGM_RSRC2:TIDIG_COMP_CNT: 0
	.section	.text._ZN2at6native29vectorized_elementwise_kernelILi4EZZZNS0_12_GLOBAL__N_121bessel_y0_kernel_cudaERNS_18TensorIteratorBaseEENKUlvE_clEvENKUlvE_clEvEUldE_St5arrayIPcLm2EEEEviT0_T1_,"axG",@progbits,_ZN2at6native29vectorized_elementwise_kernelILi4EZZZNS0_12_GLOBAL__N_121bessel_y0_kernel_cudaERNS_18TensorIteratorBaseEENKUlvE_clEvENKUlvE_clEvEUldE_St5arrayIPcLm2EEEEviT0_T1_,comdat
	.globl	_ZN2at6native29vectorized_elementwise_kernelILi4EZZZNS0_12_GLOBAL__N_121bessel_y0_kernel_cudaERNS_18TensorIteratorBaseEENKUlvE_clEvENKUlvE_clEvEUldE_St5arrayIPcLm2EEEEviT0_T1_ ; -- Begin function _ZN2at6native29vectorized_elementwise_kernelILi4EZZZNS0_12_GLOBAL__N_121bessel_y0_kernel_cudaERNS_18TensorIteratorBaseEENKUlvE_clEvENKUlvE_clEvEUldE_St5arrayIPcLm2EEEEviT0_T1_
	.p2align	8
	.type	_ZN2at6native29vectorized_elementwise_kernelILi4EZZZNS0_12_GLOBAL__N_121bessel_y0_kernel_cudaERNS_18TensorIteratorBaseEENKUlvE_clEvENKUlvE_clEvEUldE_St5arrayIPcLm2EEEEviT0_T1_,@function
_ZN2at6native29vectorized_elementwise_kernelILi4EZZZNS0_12_GLOBAL__N_121bessel_y0_kernel_cudaERNS_18TensorIteratorBaseEENKUlvE_clEvENKUlvE_clEvEUldE_St5arrayIPcLm2EEEEviT0_T1_: ; @_ZN2at6native29vectorized_elementwise_kernelILi4EZZZNS0_12_GLOBAL__N_121bessel_y0_kernel_cudaERNS_18TensorIteratorBaseEENKUlvE_clEvENKUlvE_clEvEUldE_St5arrayIPcLm2EEEEviT0_T1_
; %bb.0:
	s_mov_b32 s33, s6
	s_load_dword s6, s[4:5], 0x0
	s_load_dwordx4 s[36:39], s[4:5], 0x8
	s_add_u32 s0, s0, s7
	s_addc_u32 s1, s1, 0
	s_lshl_b32 s4, s33, 10
	s_waitcnt lgkmcnt(0)
	s_sub_i32 s34, s6, s4
	v_mov_b32_e32 v40, v0
	s_cmpk_gt_i32 s34, 0x3ff
	s_mov_b64 s[4:5], -1
	s_mov_b32 s32, 0
	s_cbranch_scc1 .LBB4_3
; %bb.1:
	s_andn2_b64 vcc, exec, s[4:5]
	s_cbranch_vccz .LBB4_4
.LBB4_2:
	s_endpgm
.LBB4_3:
	s_getpc_b64 s[4:5]
	s_add_u32 s4, s4, _ZN2at6native25elementwise_kernel_helperILb0EZZZNS0_12_GLOBAL__N_121bessel_y0_kernel_cudaERNS_18TensorIteratorBaseEENKUlvE_clEvENKUlvE_clEvEUldE_NS0_6memory8policies10vectorizedILi4ESt5arrayIPcLm2EELi4EEEEEvT0_T1_@rel32@lo+4
	s_addc_u32 s5, s5, _ZN2at6native25elementwise_kernel_helperILb0EZZZNS0_12_GLOBAL__N_121bessel_y0_kernel_cudaERNS_18TensorIteratorBaseEENKUlvE_clEvENKUlvE_clEvEUldE_NS0_6memory8policies10vectorizedILi4ESt5arrayIPcLm2EELi4EEEEEvT0_T1_@rel32@hi+12
	s_mov_b32 s12, s33
	v_mov_b32_e32 v31, v40
	v_mov_b32_e32 v0, s36
	;; [unrolled: 1-line block ×5, first 2 shown]
	s_swappc_b64 s[30:31], s[4:5]
	s_cbranch_execnz .LBB4_2
.LBB4_4:
	s_getpc_b64 s[4:5]
	s_add_u32 s4, s4, _ZN2at6native25elementwise_kernel_helperILb0EZZZNS0_12_GLOBAL__N_121bessel_y0_kernel_cudaERNS_18TensorIteratorBaseEENKUlvE_clEvENKUlvE_clEvEUldE_NS0_6memory8policies11unroll_baseILi256ESt5arrayIPcLm2EE23TrivialOffsetCalculatorILi1EjESF_NS8_15LoadWithoutCastENS8_16StoreWithoutCastELi4ELi1EEEEEvT0_T1_@rel32@lo+4
	s_addc_u32 s5, s5, _ZN2at6native25elementwise_kernel_helperILb0EZZZNS0_12_GLOBAL__N_121bessel_y0_kernel_cudaERNS_18TensorIteratorBaseEENKUlvE_clEvENKUlvE_clEvEUldE_NS0_6memory8policies11unroll_baseILi256ESt5arrayIPcLm2EE23TrivialOffsetCalculatorILi1EjESF_NS8_15LoadWithoutCastENS8_16StoreWithoutCastELi4ELi1EEEEEvT0_T1_@rel32@hi+12
	s_mov_b32 s12, s33
	v_mov_b32_e32 v31, v40
	v_mov_b32_e32 v0, s36
	v_mov_b32_e32 v1, s37
	v_mov_b32_e32 v2, s38
	v_mov_b32_e32 v3, s39
	v_mov_b32_e32 v4, s34
	s_swappc_b64 s[30:31], s[4:5]
	s_endpgm
	.section	.rodata,"a",@progbits
	.p2align	6, 0x0
	.amdhsa_kernel _ZN2at6native29vectorized_elementwise_kernelILi4EZZZNS0_12_GLOBAL__N_121bessel_y0_kernel_cudaERNS_18TensorIteratorBaseEENKUlvE_clEvENKUlvE_clEvEUldE_St5arrayIPcLm2EEEEviT0_T1_
		.amdhsa_group_segment_fixed_size 0
		.amdhsa_private_segment_fixed_size 0
		.amdhsa_kernarg_size 24
		.amdhsa_user_sgpr_count 6
		.amdhsa_user_sgpr_private_segment_buffer 1
		.amdhsa_user_sgpr_dispatch_ptr 0
		.amdhsa_user_sgpr_queue_ptr 0
		.amdhsa_user_sgpr_kernarg_segment_ptr 1
		.amdhsa_user_sgpr_dispatch_id 0
		.amdhsa_user_sgpr_flat_scratch_init 0
		.amdhsa_user_sgpr_private_segment_size 0
		.amdhsa_uses_dynamic_stack 0
		.amdhsa_system_sgpr_private_segment_wavefront_offset 0
		.amdhsa_system_sgpr_workgroup_id_x 1
		.amdhsa_system_sgpr_workgroup_id_y 0
		.amdhsa_system_sgpr_workgroup_id_z 0
		.amdhsa_system_sgpr_workgroup_info 0
		.amdhsa_system_vgpr_workitem_id 0
		.amdhsa_next_free_vgpr 82
		.amdhsa_next_free_sgpr 48
		.amdhsa_reserve_vcc 1
		.amdhsa_reserve_flat_scratch 0
		.amdhsa_float_round_mode_32 0
		.amdhsa_float_round_mode_16_64 0
		.amdhsa_float_denorm_mode_32 3
		.amdhsa_float_denorm_mode_16_64 3
		.amdhsa_dx10_clamp 1
		.amdhsa_ieee_mode 1
		.amdhsa_fp16_overflow 0
		.amdhsa_exception_fp_ieee_invalid_op 0
		.amdhsa_exception_fp_denorm_src 0
		.amdhsa_exception_fp_ieee_div_zero 0
		.amdhsa_exception_fp_ieee_overflow 0
		.amdhsa_exception_fp_ieee_underflow 0
		.amdhsa_exception_fp_ieee_inexact 0
		.amdhsa_exception_int_div_zero 0
	.end_amdhsa_kernel
	.section	.text._ZN2at6native29vectorized_elementwise_kernelILi4EZZZNS0_12_GLOBAL__N_121bessel_y0_kernel_cudaERNS_18TensorIteratorBaseEENKUlvE_clEvENKUlvE_clEvEUldE_St5arrayIPcLm2EEEEviT0_T1_,"axG",@progbits,_ZN2at6native29vectorized_elementwise_kernelILi4EZZZNS0_12_GLOBAL__N_121bessel_y0_kernel_cudaERNS_18TensorIteratorBaseEENKUlvE_clEvENKUlvE_clEvEUldE_St5arrayIPcLm2EEEEviT0_T1_,comdat
.Lfunc_end4:
	.size	_ZN2at6native29vectorized_elementwise_kernelILi4EZZZNS0_12_GLOBAL__N_121bessel_y0_kernel_cudaERNS_18TensorIteratorBaseEENKUlvE_clEvENKUlvE_clEvEUldE_St5arrayIPcLm2EEEEviT0_T1_, .Lfunc_end4-_ZN2at6native29vectorized_elementwise_kernelILi4EZZZNS0_12_GLOBAL__N_121bessel_y0_kernel_cudaERNS_18TensorIteratorBaseEENKUlvE_clEvENKUlvE_clEvEUldE_St5arrayIPcLm2EEEEviT0_T1_
                                        ; -- End function
	.set _ZN2at6native29vectorized_elementwise_kernelILi4EZZZNS0_12_GLOBAL__N_121bessel_y0_kernel_cudaERNS_18TensorIteratorBaseEENKUlvE_clEvENKUlvE_clEvEUldE_St5arrayIPcLm2EEEEviT0_T1_.num_vgpr, max(41, .L_ZN2at6native25elementwise_kernel_helperILb0EZZZNS0_12_GLOBAL__N_121bessel_y0_kernel_cudaERNS_18TensorIteratorBaseEENKUlvE_clEvENKUlvE_clEvEUldE_NS0_6memory8policies10vectorizedILi4ESt5arrayIPcLm2EELi4EEEEEvT0_T1_.num_vgpr, .L_ZN2at6native25elementwise_kernel_helperILb0EZZZNS0_12_GLOBAL__N_121bessel_y0_kernel_cudaERNS_18TensorIteratorBaseEENKUlvE_clEvENKUlvE_clEvEUldE_NS0_6memory8policies11unroll_baseILi256ESt5arrayIPcLm2EE23TrivialOffsetCalculatorILi1EjESF_NS8_15LoadWithoutCastENS8_16StoreWithoutCastELi4ELi1EEEEEvT0_T1_.num_vgpr)
	.set _ZN2at6native29vectorized_elementwise_kernelILi4EZZZNS0_12_GLOBAL__N_121bessel_y0_kernel_cudaERNS_18TensorIteratorBaseEENKUlvE_clEvENKUlvE_clEvEUldE_St5arrayIPcLm2EEEEviT0_T1_.num_agpr, max(0, .L_ZN2at6native25elementwise_kernel_helperILb0EZZZNS0_12_GLOBAL__N_121bessel_y0_kernel_cudaERNS_18TensorIteratorBaseEENKUlvE_clEvENKUlvE_clEvEUldE_NS0_6memory8policies10vectorizedILi4ESt5arrayIPcLm2EELi4EEEEEvT0_T1_.num_agpr, .L_ZN2at6native25elementwise_kernel_helperILb0EZZZNS0_12_GLOBAL__N_121bessel_y0_kernel_cudaERNS_18TensorIteratorBaseEENKUlvE_clEvENKUlvE_clEvEUldE_NS0_6memory8policies11unroll_baseILi256ESt5arrayIPcLm2EE23TrivialOffsetCalculatorILi1EjESF_NS8_15LoadWithoutCastENS8_16StoreWithoutCastELi4ELi1EEEEEvT0_T1_.num_agpr)
	.set _ZN2at6native29vectorized_elementwise_kernelILi4EZZZNS0_12_GLOBAL__N_121bessel_y0_kernel_cudaERNS_18TensorIteratorBaseEENKUlvE_clEvENKUlvE_clEvEUldE_St5arrayIPcLm2EEEEviT0_T1_.numbered_sgpr, max(40, .L_ZN2at6native25elementwise_kernel_helperILb0EZZZNS0_12_GLOBAL__N_121bessel_y0_kernel_cudaERNS_18TensorIteratorBaseEENKUlvE_clEvENKUlvE_clEvEUldE_NS0_6memory8policies10vectorizedILi4ESt5arrayIPcLm2EELi4EEEEEvT0_T1_.numbered_sgpr, .L_ZN2at6native25elementwise_kernel_helperILb0EZZZNS0_12_GLOBAL__N_121bessel_y0_kernel_cudaERNS_18TensorIteratorBaseEENKUlvE_clEvENKUlvE_clEvEUldE_NS0_6memory8policies11unroll_baseILi256ESt5arrayIPcLm2EE23TrivialOffsetCalculatorILi1EjESF_NS8_15LoadWithoutCastENS8_16StoreWithoutCastELi4ELi1EEEEEvT0_T1_.numbered_sgpr)
	.set _ZN2at6native29vectorized_elementwise_kernelILi4EZZZNS0_12_GLOBAL__N_121bessel_y0_kernel_cudaERNS_18TensorIteratorBaseEENKUlvE_clEvENKUlvE_clEvEUldE_St5arrayIPcLm2EEEEviT0_T1_.num_named_barrier, max(0, .L_ZN2at6native25elementwise_kernel_helperILb0EZZZNS0_12_GLOBAL__N_121bessel_y0_kernel_cudaERNS_18TensorIteratorBaseEENKUlvE_clEvENKUlvE_clEvEUldE_NS0_6memory8policies10vectorizedILi4ESt5arrayIPcLm2EELi4EEEEEvT0_T1_.num_named_barrier, .L_ZN2at6native25elementwise_kernel_helperILb0EZZZNS0_12_GLOBAL__N_121bessel_y0_kernel_cudaERNS_18TensorIteratorBaseEENKUlvE_clEvENKUlvE_clEvEUldE_NS0_6memory8policies11unroll_baseILi256ESt5arrayIPcLm2EE23TrivialOffsetCalculatorILi1EjESF_NS8_15LoadWithoutCastENS8_16StoreWithoutCastELi4ELi1EEEEEvT0_T1_.num_named_barrier)
	.set _ZN2at6native29vectorized_elementwise_kernelILi4EZZZNS0_12_GLOBAL__N_121bessel_y0_kernel_cudaERNS_18TensorIteratorBaseEENKUlvE_clEvENKUlvE_clEvEUldE_St5arrayIPcLm2EEEEviT0_T1_.private_seg_size, 0+max(.L_ZN2at6native25elementwise_kernel_helperILb0EZZZNS0_12_GLOBAL__N_121bessel_y0_kernel_cudaERNS_18TensorIteratorBaseEENKUlvE_clEvENKUlvE_clEvEUldE_NS0_6memory8policies10vectorizedILi4ESt5arrayIPcLm2EELi4EEEEEvT0_T1_.private_seg_size, .L_ZN2at6native25elementwise_kernel_helperILb0EZZZNS0_12_GLOBAL__N_121bessel_y0_kernel_cudaERNS_18TensorIteratorBaseEENKUlvE_clEvENKUlvE_clEvEUldE_NS0_6memory8policies11unroll_baseILi256ESt5arrayIPcLm2EE23TrivialOffsetCalculatorILi1EjESF_NS8_15LoadWithoutCastENS8_16StoreWithoutCastELi4ELi1EEEEEvT0_T1_.private_seg_size)
	.set _ZN2at6native29vectorized_elementwise_kernelILi4EZZZNS0_12_GLOBAL__N_121bessel_y0_kernel_cudaERNS_18TensorIteratorBaseEENKUlvE_clEvENKUlvE_clEvEUldE_St5arrayIPcLm2EEEEviT0_T1_.uses_vcc, or(1, .L_ZN2at6native25elementwise_kernel_helperILb0EZZZNS0_12_GLOBAL__N_121bessel_y0_kernel_cudaERNS_18TensorIteratorBaseEENKUlvE_clEvENKUlvE_clEvEUldE_NS0_6memory8policies10vectorizedILi4ESt5arrayIPcLm2EELi4EEEEEvT0_T1_.uses_vcc, .L_ZN2at6native25elementwise_kernel_helperILb0EZZZNS0_12_GLOBAL__N_121bessel_y0_kernel_cudaERNS_18TensorIteratorBaseEENKUlvE_clEvENKUlvE_clEvEUldE_NS0_6memory8policies11unroll_baseILi256ESt5arrayIPcLm2EE23TrivialOffsetCalculatorILi1EjESF_NS8_15LoadWithoutCastENS8_16StoreWithoutCastELi4ELi1EEEEEvT0_T1_.uses_vcc)
	.set _ZN2at6native29vectorized_elementwise_kernelILi4EZZZNS0_12_GLOBAL__N_121bessel_y0_kernel_cudaERNS_18TensorIteratorBaseEENKUlvE_clEvENKUlvE_clEvEUldE_St5arrayIPcLm2EEEEviT0_T1_.uses_flat_scratch, or(0, .L_ZN2at6native25elementwise_kernel_helperILb0EZZZNS0_12_GLOBAL__N_121bessel_y0_kernel_cudaERNS_18TensorIteratorBaseEENKUlvE_clEvENKUlvE_clEvEUldE_NS0_6memory8policies10vectorizedILi4ESt5arrayIPcLm2EELi4EEEEEvT0_T1_.uses_flat_scratch, .L_ZN2at6native25elementwise_kernel_helperILb0EZZZNS0_12_GLOBAL__N_121bessel_y0_kernel_cudaERNS_18TensorIteratorBaseEENKUlvE_clEvENKUlvE_clEvEUldE_NS0_6memory8policies11unroll_baseILi256ESt5arrayIPcLm2EE23TrivialOffsetCalculatorILi1EjESF_NS8_15LoadWithoutCastENS8_16StoreWithoutCastELi4ELi1EEEEEvT0_T1_.uses_flat_scratch)
	.set _ZN2at6native29vectorized_elementwise_kernelILi4EZZZNS0_12_GLOBAL__N_121bessel_y0_kernel_cudaERNS_18TensorIteratorBaseEENKUlvE_clEvENKUlvE_clEvEUldE_St5arrayIPcLm2EEEEviT0_T1_.has_dyn_sized_stack, or(0, .L_ZN2at6native25elementwise_kernel_helperILb0EZZZNS0_12_GLOBAL__N_121bessel_y0_kernel_cudaERNS_18TensorIteratorBaseEENKUlvE_clEvENKUlvE_clEvEUldE_NS0_6memory8policies10vectorizedILi4ESt5arrayIPcLm2EELi4EEEEEvT0_T1_.has_dyn_sized_stack, .L_ZN2at6native25elementwise_kernel_helperILb0EZZZNS0_12_GLOBAL__N_121bessel_y0_kernel_cudaERNS_18TensorIteratorBaseEENKUlvE_clEvENKUlvE_clEvEUldE_NS0_6memory8policies11unroll_baseILi256ESt5arrayIPcLm2EE23TrivialOffsetCalculatorILi1EjESF_NS8_15LoadWithoutCastENS8_16StoreWithoutCastELi4ELi1EEEEEvT0_T1_.has_dyn_sized_stack)
	.set _ZN2at6native29vectorized_elementwise_kernelILi4EZZZNS0_12_GLOBAL__N_121bessel_y0_kernel_cudaERNS_18TensorIteratorBaseEENKUlvE_clEvENKUlvE_clEvEUldE_St5arrayIPcLm2EEEEviT0_T1_.has_recursion, or(0, .L_ZN2at6native25elementwise_kernel_helperILb0EZZZNS0_12_GLOBAL__N_121bessel_y0_kernel_cudaERNS_18TensorIteratorBaseEENKUlvE_clEvENKUlvE_clEvEUldE_NS0_6memory8policies10vectorizedILi4ESt5arrayIPcLm2EELi4EEEEEvT0_T1_.has_recursion, .L_ZN2at6native25elementwise_kernel_helperILb0EZZZNS0_12_GLOBAL__N_121bessel_y0_kernel_cudaERNS_18TensorIteratorBaseEENKUlvE_clEvENKUlvE_clEvEUldE_NS0_6memory8policies11unroll_baseILi256ESt5arrayIPcLm2EE23TrivialOffsetCalculatorILi1EjESF_NS8_15LoadWithoutCastENS8_16StoreWithoutCastELi4ELi1EEEEEvT0_T1_.has_recursion)
	.set _ZN2at6native29vectorized_elementwise_kernelILi4EZZZNS0_12_GLOBAL__N_121bessel_y0_kernel_cudaERNS_18TensorIteratorBaseEENKUlvE_clEvENKUlvE_clEvEUldE_St5arrayIPcLm2EEEEviT0_T1_.has_indirect_call, or(0, .L_ZN2at6native25elementwise_kernel_helperILb0EZZZNS0_12_GLOBAL__N_121bessel_y0_kernel_cudaERNS_18TensorIteratorBaseEENKUlvE_clEvENKUlvE_clEvEUldE_NS0_6memory8policies10vectorizedILi4ESt5arrayIPcLm2EELi4EEEEEvT0_T1_.has_indirect_call, .L_ZN2at6native25elementwise_kernel_helperILb0EZZZNS0_12_GLOBAL__N_121bessel_y0_kernel_cudaERNS_18TensorIteratorBaseEENKUlvE_clEvENKUlvE_clEvEUldE_NS0_6memory8policies11unroll_baseILi256ESt5arrayIPcLm2EE23TrivialOffsetCalculatorILi1EjESF_NS8_15LoadWithoutCastENS8_16StoreWithoutCastELi4ELi1EEEEEvT0_T1_.has_indirect_call)
	.section	.AMDGPU.csdata,"",@progbits
; Kernel info:
; codeLenInByte = 180
; TotalNumSgprs: 52
; NumVgprs: 82
; ScratchSize: 0
; MemoryBound: 0
; FloatMode: 240
; IeeeMode: 1
; LDSByteSize: 0 bytes/workgroup (compile time only)
; SGPRBlocks: 6
; VGPRBlocks: 20
; NumSGPRsForWavesPerEU: 52
; NumVGPRsForWavesPerEU: 82
; Occupancy: 3
; WaveLimiterHint : 0
; COMPUTE_PGM_RSRC2:SCRATCH_EN: 0
; COMPUTE_PGM_RSRC2:USER_SGPR: 6
; COMPUTE_PGM_RSRC2:TRAP_HANDLER: 0
; COMPUTE_PGM_RSRC2:TGID_X_EN: 1
; COMPUTE_PGM_RSRC2:TGID_Y_EN: 0
; COMPUTE_PGM_RSRC2:TGID_Z_EN: 0
; COMPUTE_PGM_RSRC2:TIDIG_COMP_CNT: 0
	.section	.text._ZN2at6native29vectorized_elementwise_kernelILi2EZZZNS0_12_GLOBAL__N_121bessel_y0_kernel_cudaERNS_18TensorIteratorBaseEENKUlvE_clEvENKUlvE_clEvEUldE_St5arrayIPcLm2EEEEviT0_T1_,"axG",@progbits,_ZN2at6native29vectorized_elementwise_kernelILi2EZZZNS0_12_GLOBAL__N_121bessel_y0_kernel_cudaERNS_18TensorIteratorBaseEENKUlvE_clEvENKUlvE_clEvEUldE_St5arrayIPcLm2EEEEviT0_T1_,comdat
	.globl	_ZN2at6native29vectorized_elementwise_kernelILi2EZZZNS0_12_GLOBAL__N_121bessel_y0_kernel_cudaERNS_18TensorIteratorBaseEENKUlvE_clEvENKUlvE_clEvEUldE_St5arrayIPcLm2EEEEviT0_T1_ ; -- Begin function _ZN2at6native29vectorized_elementwise_kernelILi2EZZZNS0_12_GLOBAL__N_121bessel_y0_kernel_cudaERNS_18TensorIteratorBaseEENKUlvE_clEvENKUlvE_clEvEUldE_St5arrayIPcLm2EEEEviT0_T1_
	.p2align	8
	.type	_ZN2at6native29vectorized_elementwise_kernelILi2EZZZNS0_12_GLOBAL__N_121bessel_y0_kernel_cudaERNS_18TensorIteratorBaseEENKUlvE_clEvENKUlvE_clEvEUldE_St5arrayIPcLm2EEEEviT0_T1_,@function
_ZN2at6native29vectorized_elementwise_kernelILi2EZZZNS0_12_GLOBAL__N_121bessel_y0_kernel_cudaERNS_18TensorIteratorBaseEENKUlvE_clEvENKUlvE_clEvEUldE_St5arrayIPcLm2EEEEviT0_T1_: ; @_ZN2at6native29vectorized_elementwise_kernelILi2EZZZNS0_12_GLOBAL__N_121bessel_y0_kernel_cudaERNS_18TensorIteratorBaseEENKUlvE_clEvENKUlvE_clEvEUldE_St5arrayIPcLm2EEEEviT0_T1_
; %bb.0:
	s_add_u32 s0, s0, s7
	s_load_dword s7, s[4:5], 0x0
	s_load_dwordx4 s[8:11], s[4:5], 0x8
	s_addc_u32 s1, s1, 0
	s_lshl_b32 s4, s6, 10
	s_mov_b64 s[12:13], -1
	s_waitcnt lgkmcnt(0)
	s_sub_i32 s7, s7, s4
	s_cmpk_gt_i32 s7, 0x3ff
	s_mov_b32 s32, 0
	s_cbranch_scc0 .LBB5_14
; %bb.1:
	s_ashr_i32 s5, s4, 31
	s_lshl_b64 s[12:13], s[4:5], 3
	s_add_u32 s4, s10, s12
	s_addc_u32 s5, s11, s13
	v_lshlrev_b32_e32 v25, 4, v0
	global_load_dwordx4 v[7:10], v25, s[4:5]
	v_mov_b32_e32 v1, s5
	v_add_co_u32_e32 v2, vcc, s4, v25
	v_addc_co_u32_e32 v3, vcc, 0, v1, vcc
	v_add_co_u32_e32 v1, vcc, 0x1000, v2
	v_addc_co_u32_e32 v2, vcc, 0, v3, vcc
	global_load_dwordx4 v[1:4], v[1:2], off
	s_mov_b32 s4, 0
	s_mov_b32 s5, 0x40140000
                                        ; implicit-def: $vgpr5_vgpr6
	s_waitcnt vmcnt(1)
	v_cmp_ge_f64_e32 vcc, s[4:5], v[7:8]
	s_and_saveexec_b64 s[4:5], vcc
	s_xor_b64 s[4:5], exec, s[4:5]
	s_cbranch_execz .LBB5_11
; %bb.2:
	v_cmp_neq_f64_e32 vcc, 0, v[7:8]
	v_mov_b32_e32 v5, 0
	v_mov_b32_e32 v6, 0xfff00000
	s_and_saveexec_b64 s[14:15], vcc
	s_cbranch_execz .LBB5_10
; %bb.3:
	v_cmp_ngt_f64_e32 vcc, 0, v[7:8]
	v_mov_b32_e32 v5, 0
	v_mov_b32_e32 v6, 0x7ff80000
	s_and_saveexec_b64 s[16:17], vcc
	s_cbranch_execz .LBB5_9
; %bb.4:
	v_mul_f64 v[5:6], v[7:8], v[7:8]
	s_mov_b32 s18, 0x88e368f1
	s_mov_b32 s19, 0x3ee4f8b5
	v_cmp_ngt_f64_e32 vcc, s[18:19], v[7:8]
                                        ; implicit-def: $vgpr11_vgpr12
	v_mul_f64 v[13:14], v[5:6], 0
	s_and_saveexec_b64 s[18:19], vcc
	s_xor_b64 s[18:19], exec, s[18:19]
	s_cbranch_execz .LBB5_6
; %bb.5:
	s_mov_b32 s20, 0xa696b78c
	s_mov_b32 s21, 0x407f3902
	v_add_f64 v[11:12], v[13:14], s[20:21]
	s_mov_b32 s20, 0x36a21a67
	s_mov_b32 s21, 0x410536cb
	;; [unrolled: 1-line block ×7, first 2 shown]
	v_fma_f64 v[11:12], v[5:6], v[11:12], s[20:21]
	s_mov_b32 s20, 0x2eac0634
	s_mov_b32 s21, 0x41871934
	;; [unrolled: 1-line block ×3, first 2 shown]
	v_fma_f64 v[11:12], v[5:6], v[11:12], s[20:21]
	s_mov_b32 s20, 0xad1c8325
	s_mov_b32 s21, 0xc1f1dc53
	v_add_f64 v[15:16], v[13:14], s[20:21]
	s_mov_b32 s20, 0xe0d900f7
	s_mov_b32 s21, 0xc2ec5614
	v_fma_f64 v[11:12], v[5:6], v[11:12], s[24:25]
	s_mov_b32 s24, 0x72182e46
	s_mov_b32 s25, 0x427ebeb3
	v_fma_f64 v[15:16], v[5:6], v[15:16], s[22:23]
	s_mov_b32 s22, 0x80462bbb
	s_mov_b32 s23, 0xc01721fb
	v_add_f64 v[17:18], v[5:6], s[22:23]
	s_mov_b32 s22, 0x69ff5fb4
	v_fma_f64 v[11:12], v[5:6], v[11:12], s[24:25]
	s_mov_b32 s24, 0xa621dd6f
	s_mov_b32 s25, 0xc03e78a4
	v_add_f64 v[19:20], v[5:6], s[24:25]
	v_fma_f64 v[15:16], v[5:6], v[15:16], s[20:21]
	s_mov_b32 s20, 0x7e7b2e9c
	s_mov_b32 s21, 0x435c4141
	;; [unrolled: 1-line block ×3, first 2 shown]
	v_fma_f64 v[11:12], v[5:6], v[11:12], s[26:27]
	v_mul_f64 v[17:18], v[17:18], v[19:20]
	v_fma_f64 v[15:16], v[5:6], v[15:16], s[22:23]
	v_fma_f64 v[11:12], v[5:6], v[11:12], s[20:21]
	s_mov_b32 s20, 0xc7b662cc
	s_mov_b32 s21, 0x43b7be34
	v_mul_f64 v[15:16], v[17:18], v[15:16]
	v_fma_f64 v[11:12], v[5:6], v[11:12], s[20:21]
	v_div_scale_f64 v[17:18], s[20:21], v[11:12], v[11:12], v[15:16]
	v_div_scale_f64 v[23:24], vcc, v[15:16], v[11:12], v[15:16]
	v_rcp_f64_e32 v[19:20], v[17:18]
	v_fma_f64 v[21:22], -v[17:18], v[19:20], 1.0
	v_fma_f64 v[19:20], v[19:20], v[21:22], v[19:20]
	v_fma_f64 v[21:22], -v[17:18], v[19:20], 1.0
	v_fma_f64 v[19:20], v[19:20], v[21:22], v[19:20]
	v_mul_f64 v[21:22], v[23:24], v[19:20]
	v_fma_f64 v[17:18], -v[17:18], v[21:22], v[23:24]
	v_div_fmas_f64 v[17:18], v[17:18], v[19:20], v[21:22]
	v_div_fixup_f64 v[11:12], v[17:18], v[11:12], v[15:16]
.LBB5_6:
	s_andn2_saveexec_b64 s[18:19], s[18:19]
	s_cbranch_execz .LBB5_8
; %bb.7:
	s_mov_b32 s20, 0
	s_mov_b32 s21, 0xbfd00000
	v_fma_f64 v[11:12], v[5:6], s[20:21], 1.0
.LBB5_8:
	s_or_b64 exec, exec, s[18:19]
	v_frexp_mant_f64_e32 v[15:16], v[7:8]
	s_mov_b32 s19, 0x3fe55555
	s_mov_b32 s18, 0x55555555
	;; [unrolled: 1-line block ×7, first 2 shown]
	v_cmp_gt_f64_e32 vcc, s[18:19], v[15:16]
	s_mov_b32 s35, 0x3fcc71c0
	s_mov_b32 s22, 0x32e48896
	s_mov_b32 s30, 0x576dfcb6
	s_mov_b32 s23, 0xc16bf81f
	s_mov_b32 s31, 0x40904522
	s_mov_b32 s24, 0xf0284cdd
	s_mov_b32 s25, 0x41f43f78
	v_cndmask_b32_e64 v17, 0, 1, vcc
	v_ldexp_f64 v[15:16], v[15:16], v17
	s_mov_b32 s18, 0x55555780
	s_mov_b32 s28, 0x3cc3ac2d
	;; [unrolled: 1-line block ×3, first 2 shown]
	v_add_f64 v[17:18], v[15:16], 1.0
	v_add_f64 v[23:24], v[15:16], -1.0
	v_rcp_f64_e32 v[19:20], v[17:18]
	v_add_f64 v[26:27], v[17:18], -1.0
	v_add_f64 v[15:16], v[15:16], -v[26:27]
	v_fma_f64 v[21:22], -v[17:18], v[19:20], 1.0
	v_fma_f64 v[19:20], v[21:22], v[19:20], v[19:20]
	v_fma_f64 v[21:22], -v[17:18], v[19:20], 1.0
	v_fma_f64 v[19:20], v[21:22], v[19:20], v[19:20]
	v_mul_f64 v[21:22], v[23:24], v[19:20]
	v_mul_f64 v[28:29], v[17:18], v[21:22]
	v_fma_f64 v[17:18], v[21:22], v[17:18], -v[28:29]
	v_fma_f64 v[15:16], v[21:22], v[15:16], v[17:18]
	v_add_f64 v[17:18], v[28:29], v[15:16]
	v_add_f64 v[26:27], v[23:24], -v[17:18]
	v_add_f64 v[28:29], v[17:18], -v[28:29]
	;; [unrolled: 1-line block ×4, first 2 shown]
	v_frexp_exp_i32_f64_e32 v28, v[7:8]
	v_add_f64 v[17:18], v[23:24], -v[17:18]
	v_mov_b32_e32 v23, 0x6b47b09a
	v_mov_b32_e32 v24, 0x3fc38538
	v_subbrev_co_u32_e32 v28, vcc, 0, v28, vcc
	v_add_f64 v[15:16], v[15:16], v[17:18]
	v_add_f64 v[15:16], v[26:27], v[15:16]
	v_mul_f64 v[15:16], v[19:20], v[15:16]
	v_add_f64 v[17:18], v[21:22], v[15:16]
	v_mul_f64 v[19:20], v[17:18], v[17:18]
	v_fma_f64 v[23:24], v[19:20], s[20:21], v[23:24]
	s_mov_b32 s20, 0xe896898f
	s_mov_b32 s21, 0x40ce7437
	v_add_f64 v[26:27], v[13:14], s[20:21]
	s_mov_b32 s20, 0x9b27acf1
	s_mov_b32 s21, 0x3fd24924
	v_add_f64 v[13:14], v[13:14], s[30:31]
	s_mov_b32 s30, 0x998ef7b6
	v_fma_f64 v[23:24], v[19:20], v[23:24], s[26:27]
	s_mov_b32 s31, 0x3fd99999
	v_mul_f64 v[7:8], v[17:18], v[19:20]
	v_fma_f64 v[26:27], v[5:6], v[26:27], s[22:23]
	s_mov_b32 s26, 0xe1d6bd2b
	s_mov_b32 s27, 0xc26c957b
	;; [unrolled: 1-line block ×4, first 2 shown]
	v_fma_f64 v[23:24], v[19:20], v[23:24], s[34:35]
	s_mov_b32 s34, 0xd1d8cc02
	s_mov_b32 s35, 0xc328a121
	v_fma_f64 v[26:27], v[5:6], v[26:27], s[24:25]
	s_mov_b32 s24, 0xfefa39ef
	s_mov_b32 s25, 0x3fe62e42
	;; [unrolled: 3-line block ×5, first 2 shown]
	v_fma_f64 v[13:14], v[5:6], v[13:14], s[30:31]
	v_fma_f64 v[19:20], v[19:20], v[23:24], s[18:19]
	;; [unrolled: 1-line block ×3, first 2 shown]
	v_ldexp_f64 v[26:27], v[17:18], 1
	s_mov_b32 s18, 0x2b8664bc
	s_mov_b32 s19, 0x42341ddb
	v_fma_f64 v[13:14], v[5:6], v[13:14], s[18:19]
	v_add_f64 v[17:18], v[17:18], -v[21:22]
	v_cvt_f64_i32_e32 v[21:22], v28
	v_mul_f64 v[7:8], v[7:8], v[19:20]
	v_fma_f64 v[19:20], v[5:6], v[23:24], s[28:29]
	s_mov_b32 s18, 0xdfeb596d
	v_mul_f64 v[28:29], v[21:22], s[24:25]
	s_mov_b32 s19, 0x43268910
	v_fma_f64 v[13:14], v[5:6], v[13:14], s[20:21]
	v_add_f64 v[15:16], v[15:16], -v[17:18]
	s_mov_b32 s20, 0xbcf9b5d0
	v_add_f64 v[23:24], v[26:27], v[7:8]
	v_fma_f64 v[19:20], v[5:6], v[19:20], s[34:35]
	s_mov_b32 s21, 0x438bd25f
	v_fma_f64 v[13:14], v[5:6], v[13:14], s[18:19]
	v_ldexp_f64 v[15:16], v[15:16], 1
	s_mov_b32 s18, 0x5906367b
	v_add_f64 v[26:27], v[23:24], -v[26:27]
	v_fma_f64 v[17:18], v[5:6], v[19:20], s[22:23]
	v_fma_f64 v[19:20], v[21:22], s[24:25], -v[28:29]
	s_mov_b32 s19, 0xc3506d4b
	v_fma_f64 v[13:14], v[5:6], v[13:14], s[20:21]
	v_add_f64 v[7:8], v[7:8], -v[26:27]
	v_fma_f64 v[5:6], v[5:6], v[17:18], s[18:19]
	s_mov_b32 s18, 0x3b39803f
	s_mov_b32 s19, 0x3c7abc9e
	v_fma_f64 v[17:18], v[21:22], s[18:19], v[19:20]
	v_add_f64 v[7:8], v[15:16], v[7:8]
	v_div_scale_f64 v[15:16], s[18:19], v[13:14], v[13:14], v[5:6]
	s_mov_b32 s18, 0x6dc9c883
	v_add_f64 v[19:20], v[28:29], v[17:18]
	s_mov_b32 s19, 0x3fe45f30
	v_add_f64 v[21:22], v[23:24], v[7:8]
	v_add_f64 v[28:29], v[19:20], -v[28:29]
	v_add_f64 v[26:27], v[19:20], v[21:22]
	v_rcp_f64_e32 v[30:31], v[15:16]
	v_add_f64 v[23:24], v[21:22], -v[23:24]
	v_add_f64 v[17:18], v[17:18], -v[28:29]
	;; [unrolled: 1-line block ×5, first 2 shown]
	v_fma_f64 v[36:37], -v[15:16], v[30:31], 1.0
	v_add_f64 v[21:22], v[21:22], -v[32:33]
	v_add_f64 v[28:29], v[17:18], v[7:8]
	v_add_f64 v[19:20], v[19:20], -v[34:35]
	v_fma_f64 v[23:24], v[30:31], v[36:37], v[30:31]
	v_div_scale_f64 v[30:31], vcc, v[5:6], v[13:14], v[5:6]
	v_add_f64 v[32:33], v[28:29], -v[17:18]
	v_add_f64 v[19:20], v[21:22], v[19:20]
	v_fma_f64 v[21:22], -v[15:16], v[23:24], 1.0
	v_add_f64 v[7:8], v[7:8], -v[32:33]
	v_add_f64 v[19:20], v[28:29], v[19:20]
	v_fma_f64 v[21:22], v[23:24], v[21:22], v[23:24]
	v_add_f64 v[23:24], v[28:29], -v[32:33]
	v_add_f64 v[28:29], v[26:27], v[19:20]
	v_mul_f64 v[34:35], v[30:31], v[21:22]
	v_add_f64 v[17:18], v[17:18], -v[23:24]
	v_add_f64 v[23:24], v[28:29], -v[26:27]
	v_fma_f64 v[15:16], -v[15:16], v[34:35], v[30:31]
	v_add_f64 v[7:8], v[7:8], v[17:18]
	v_add_f64 v[17:18], v[19:20], -v[23:24]
	v_div_fmas_f64 v[15:16], v[15:16], v[21:22], v[34:35]
	v_add_f64 v[7:8], v[7:8], v[17:18]
	v_add_f64 v[7:8], v[28:29], v[7:8]
	v_div_fixup_f64 v[5:6], v[15:16], v[13:14], v[5:6]
	v_mul_f64 v[7:8], v[7:8], s[18:19]
	v_fma_f64 v[5:6], v[7:8], v[11:12], v[5:6]
.LBB5_9:
	s_or_b64 exec, exec, s[16:17]
.LBB5_10:
	s_or_b64 exec, exec, s[14:15]
.LBB5_11:
	s_andn2_saveexec_b64 s[14:15], s[4:5]
	s_cbranch_execz .LBB5_23
; %bb.12:
	s_mov_b32 s19, 0xbfe921fb
	s_mov_b32 s18, 0x54442d18
	v_add_f64 v[5:6], v[7:8], s[18:19]
	s_mov_b32 s4, 0
	s_mov_b32 s5, 0x41d00000
                                        ; implicit-def: $vgpr27
                                        ; implicit-def: $vgpr15_vgpr16
                                        ; implicit-def: $vgpr17_vgpr18
	v_trig_preop_f64 v[23:24], |v[5:6]|, 0
	v_trig_preop_f64 v[21:22], |v[5:6]|, 1
	;; [unrolled: 1-line block ×3, first 2 shown]
	v_cmp_nlt_f64_e64 s[16:17], |v[5:6]|, s[4:5]
	s_and_saveexec_b64 s[4:5], s[16:17]
	s_xor_b64 s[20:21], exec, s[4:5]
	s_cbranch_execz .LBB5_16
; %bb.13:
	s_mov_b32 s4, 0
	s_mov_b32 s5, 0x7b000000
	s_movk_i32 s19, 0xff80
	v_ldexp_f64 v[11:12], |v[5:6]|, s19
	v_cmp_ge_f64_e64 vcc, |v[5:6]|, s[4:5]
	v_and_b32_e32 v13, 0x7fffffff, v6
	s_mov_b32 s4, 0
	s_mov_b32 s5, 0x7ff00000
	v_mov_b32_e32 v39, 0x40100000
	v_mov_b32_e32 v38, 0
	s_mov_b32 s19, 0x3ff921fb
	v_cndmask_b32_e32 v12, v13, v12, vcc
	v_cndmask_b32_e32 v11, v5, v11, vcc
	v_mul_f64 v[13:14], v[23:24], v[11:12]
	v_mul_f64 v[15:16], v[21:22], v[11:12]
	;; [unrolled: 1-line block ×3, first 2 shown]
	v_fma_f64 v[17:18], v[23:24], v[11:12], -v[13:14]
	v_fma_f64 v[34:35], v[21:22], v[11:12], -v[15:16]
	;; [unrolled: 1-line block ×3, first 2 shown]
	v_add_f64 v[26:27], v[15:16], v[17:18]
	v_add_f64 v[28:29], v[26:27], -v[15:16]
	v_add_f64 v[36:37], v[13:14], v[26:27]
	v_add_f64 v[30:31], v[26:27], -v[28:29]
	v_add_f64 v[17:18], v[17:18], -v[28:29]
	v_add_f64 v[28:29], v[32:33], v[34:35]
	v_add_f64 v[13:14], v[36:37], -v[13:14]
	v_add_f64 v[15:16], v[15:16], -v[30:31]
	v_ldexp_f64 v[30:31], v[36:37], -2
	v_add_f64 v[40:41], v[28:29], -v[32:33]
	v_add_f64 v[13:14], v[26:27], -v[13:14]
	v_add_f64 v[15:16], v[17:18], v[15:16]
	v_fract_f64_e32 v[17:18], v[30:31]
	v_cmp_neq_f64_e64 vcc, |v[30:31]|, s[4:5]
	v_add_f64 v[34:35], v[34:35], -v[40:41]
	v_add_f64 v[26:27], v[28:29], v[15:16]
	v_ldexp_f64 v[17:18], v[17:18], 2
	v_add_f64 v[30:31], v[13:14], v[26:27]
	v_cndmask_b32_e32 v18, 0, v18, vcc
	v_cndmask_b32_e32 v17, 0, v17, vcc
	v_add_f64 v[42:43], v[26:27], -v[28:29]
	v_add_f64 v[36:37], v[30:31], v[17:18]
	v_add_f64 v[13:14], v[30:31], -v[13:14]
	v_add_f64 v[44:45], v[26:27], -v[42:43]
	;; [unrolled: 1-line block ×3, first 2 shown]
	v_cmp_gt_f64_e32 vcc, 0, v[36:37]
	v_add_f64 v[36:37], v[28:29], -v[40:41]
	v_add_f64 v[13:14], v[26:27], -v[13:14]
	;; [unrolled: 1-line block ×3, first 2 shown]
	v_cndmask_b32_e32 v39, 0, v39, vcc
	v_add_f64 v[17:18], v[17:18], v[38:39]
	v_add_f64 v[36:37], v[32:33], -v[36:37]
	v_add_f64 v[15:16], v[15:16], v[28:29]
	v_add_f64 v[46:47], v[30:31], v[17:18]
	;; [unrolled: 1-line block ×3, first 2 shown]
	v_cvt_i32_f64_e32 v41, v[46:47]
	v_add_f64 v[15:16], v[34:35], v[15:16]
	v_cvt_f64_i32_e32 v[39:40], v41
	v_add_f64 v[17:18], v[17:18], -v[39:40]
	v_add_f64 v[11:12], v[11:12], v[15:16]
	v_add_f64 v[28:29], v[30:31], v[17:18]
	v_add_f64 v[11:12], v[13:14], v[11:12]
	v_add_f64 v[15:16], v[28:29], -v[17:18]
	v_cmp_le_f64_e32 vcc, 0.5, v[28:29]
	v_add_f64 v[13:14], v[30:31], -v[15:16]
	v_mov_b32_e32 v15, 0x3ff00000
	v_cndmask_b32_e32 v39, 0, v15, vcc
	v_addc_co_u32_e64 v27, s[4:5], 0, v41, vcc
	s_mov_b32 s4, 0x33145c07
	s_mov_b32 s5, 0x3c91a626
	v_add_f64 v[11:12], v[11:12], v[13:14]
	v_add_f64 v[13:14], v[28:29], -v[38:39]
	v_add_f64 v[15:16], v[13:14], v[11:12]
	v_mul_f64 v[17:18], v[15:16], s[18:19]
	v_add_f64 v[13:14], v[15:16], -v[13:14]
	v_fma_f64 v[28:29], v[15:16], s[18:19], -v[17:18]
	v_add_f64 v[11:12], v[11:12], -v[13:14]
	v_fma_f64 v[13:14], v[15:16], s[4:5], v[28:29]
	v_fma_f64 v[11:12], v[11:12], s[18:19], v[13:14]
	v_add_f64 v[15:16], v[17:18], v[11:12]
	v_add_f64 v[13:14], v[15:16], -v[17:18]
	v_add_f64 v[17:18], v[11:12], -v[13:14]
	s_andn2_saveexec_b64 s[4:5], s[20:21]
	s_cbranch_execz .LBB5_18
	s_branch .LBB5_17
.LBB5_14:
	s_and_b64 vcc, exec, s[12:13]
	s_cbranch_vccz .LBB5_84
; %bb.15:
	s_getpc_b64 s[4:5]
	s_add_u32 s4, s4, _ZN2at6native25elementwise_kernel_helperILb0EZZZNS0_12_GLOBAL__N_121bessel_y0_kernel_cudaERNS_18TensorIteratorBaseEENKUlvE_clEvENKUlvE_clEvEUldE_NS0_6memory8policies11unroll_baseILi256ESt5arrayIPcLm2EE23TrivialOffsetCalculatorILi1EjESF_NS8_15LoadWithoutCastENS8_16StoreWithoutCastELi4ELi1EEEEEvT0_T1_@rel32@lo+4
	s_addc_u32 s5, s5, _ZN2at6native25elementwise_kernel_helperILb0EZZZNS0_12_GLOBAL__N_121bessel_y0_kernel_cudaERNS_18TensorIteratorBaseEENKUlvE_clEvENKUlvE_clEvEUldE_NS0_6memory8policies11unroll_baseILi256ESt5arrayIPcLm2EE23TrivialOffsetCalculatorILi1EjESF_NS8_15LoadWithoutCastENS8_16StoreWithoutCastELi4ELi1EEEEEvT0_T1_@rel32@hi+12
	s_mov_b32 s12, s6
	v_mov_b32_e32 v31, v0
	v_mov_b32_e32 v0, s8
	;; [unrolled: 1-line block ×6, first 2 shown]
	s_swappc_b64 s[30:31], s[4:5]
	s_endpgm
.LBB5_16:
	s_andn2_saveexec_b64 s[4:5], s[20:21]
	s_cbranch_execz .LBB5_18
.LBB5_17:
	s_mov_b32 s18, 0x6dc9c883
	s_mov_b32 s19, 0x3fe45f30
	v_mul_f64 v[11:12], |v[5:6]|, s[18:19]
	s_mov_b32 s18, 0x54442d18
	s_mov_b32 s19, 0xbff921fb
	;; [unrolled: 1-line block ×4, first 2 shown]
	v_rndne_f64_e32 v[11:12], v[11:12]
	v_fma_f64 v[13:14], v[11:12], s[18:19], |v[5:6]|
	v_mul_f64 v[15:16], v[11:12], s[20:21]
	s_mov_b32 s18, 0x252049c0
	s_mov_b32 s19, 0xb97b839a
	v_add_f64 v[17:18], v[13:14], v[15:16]
	v_add_f64 v[26:27], v[13:14], -v[17:18]
	v_fma_f64 v[13:14], v[11:12], s[20:21], v[13:14]
	s_mov_b32 s21, 0x3c91a626
	v_add_f64 v[26:27], v[26:27], v[15:16]
	v_add_f64 v[17:18], v[17:18], -v[13:14]
	v_fma_f64 v[15:16], v[11:12], s[20:21], v[15:16]
	v_add_f64 v[17:18], v[17:18], v[26:27]
	v_cvt_i32_f64_e32 v27, v[11:12]
	v_add_f64 v[15:16], v[17:18], -v[15:16]
	v_fma_f64 v[17:18], v[11:12], s[18:19], v[15:16]
	v_add_f64 v[15:16], v[13:14], v[17:18]
	v_add_f64 v[13:14], v[15:16], -v[13:14]
	v_add_f64 v[17:18], v[17:18], -v[13:14]
.LBB5_18:
	s_or_b64 exec, exec, s[4:5]
                                        ; implicit-def: $vgpr26
                                        ; implicit-def: $vgpr11_vgpr12
                                        ; implicit-def: $vgpr13_vgpr14
	s_and_saveexec_b64 s[4:5], s[16:17]
	s_xor_b64 s[4:5], exec, s[4:5]
	s_cbranch_execz .LBB5_20
; %bb.19:
	s_mov_b32 s16, 0
	s_mov_b32 s17, 0x7b000000
	s_movk_i32 s18, 0xff80
	v_ldexp_f64 v[11:12], |v[5:6]|, s18
	v_cmp_ge_f64_e64 vcc, |v[5:6]|, s[16:17]
	v_and_b32_e32 v13, 0x7fffffff, v6
	s_mov_b32 s16, 0
	s_mov_b32 s17, 0x7ff00000
	v_mov_b32_e32 v26, 0x40100000
	v_mov_b32_e32 v40, 0
	s_mov_b32 s18, 0x33145c07
	s_mov_b32 s19, 0x3c91a626
	v_cndmask_b32_e32 v12, v13, v12, vcc
	v_cndmask_b32_e32 v11, v5, v11, vcc
	v_mul_f64 v[13:14], v[23:24], v[11:12]
	v_mul_f64 v[28:29], v[21:22], v[11:12]
	;; [unrolled: 1-line block ×3, first 2 shown]
	v_fma_f64 v[23:24], v[23:24], v[11:12], -v[13:14]
	v_fma_f64 v[21:22], v[21:22], v[11:12], -v[28:29]
	;; [unrolled: 1-line block ×3, first 2 shown]
	v_add_f64 v[30:31], v[28:29], v[23:24]
	v_add_f64 v[32:33], v[30:31], -v[28:29]
	v_add_f64 v[38:39], v[13:14], v[30:31]
	v_add_f64 v[34:35], v[30:31], -v[32:33]
	v_add_f64 v[23:24], v[23:24], -v[32:33]
	v_add_f64 v[32:33], v[36:37], v[21:22]
	v_add_f64 v[13:14], v[38:39], -v[13:14]
	v_add_f64 v[28:29], v[28:29], -v[34:35]
	v_ldexp_f64 v[34:35], v[38:39], -2
	v_add_f64 v[13:14], v[30:31], -v[13:14]
	v_add_f64 v[23:24], v[23:24], v[28:29]
	v_fract_f64_e32 v[28:29], v[34:35]
	v_cmp_neq_f64_e64 vcc, |v[34:35]|, s[16:17]
	s_mov_b32 s16, 0x54442d18
	s_mov_b32 s17, 0x3ff921fb
	v_add_f64 v[30:31], v[32:33], v[23:24]
	v_ldexp_f64 v[28:29], v[28:29], 2
	v_add_f64 v[34:35], v[13:14], v[30:31]
	v_cndmask_b32_e32 v29, 0, v29, vcc
	v_cndmask_b32_e32 v28, 0, v28, vcc
	v_add_f64 v[42:43], v[30:31], -v[32:33]
	v_add_f64 v[38:39], v[34:35], v[28:29]
	v_add_f64 v[13:14], v[34:35], -v[13:14]
	v_add_f64 v[46:47], v[30:31], -v[42:43]
	;; [unrolled: 1-line block ×3, first 2 shown]
	v_cmp_gt_f64_e32 vcc, 0, v[38:39]
	v_add_f64 v[38:39], v[32:33], -v[36:37]
	v_add_f64 v[13:14], v[30:31], -v[13:14]
	v_cndmask_b32_e32 v41, 0, v26, vcc
	v_add_f64 v[28:29], v[28:29], v[40:41]
	v_add_f64 v[44:45], v[32:33], -v[38:39]
	v_add_f64 v[21:22], v[21:22], -v[38:39]
	;; [unrolled: 1-line block ×3, first 2 shown]
	v_add_f64 v[48:49], v[34:35], v[28:29]
	v_add_f64 v[38:39], v[36:37], -v[44:45]
	v_add_f64 v[23:24], v[23:24], v[32:33]
	v_cvt_i32_f64_e32 v26, v[48:49]
	v_add_f64 v[21:22], v[21:22], v[38:39]
	v_cvt_f64_i32_e32 v[41:42], v26
	v_add_f64 v[28:29], v[28:29], -v[41:42]
	v_add_f64 v[19:20], v[21:22], v[23:24]
	v_add_f64 v[21:22], v[34:35], v[28:29]
	;; [unrolled: 1-line block ×3, first 2 shown]
	v_add_f64 v[19:20], v[21:22], -v[28:29]
	v_cmp_le_f64_e32 vcc, 0.5, v[21:22]
	v_add_f64 v[11:12], v[13:14], v[11:12]
	v_add_f64 v[13:14], v[34:35], -v[19:20]
	v_mov_b32_e32 v19, 0x3ff00000
	v_cndmask_b32_e32 v41, 0, v19, vcc
	v_addc_co_u32_e32 v26, vcc, 0, v26, vcc
	v_add_f64 v[11:12], v[11:12], v[13:14]
	v_add_f64 v[13:14], v[21:22], -v[40:41]
	v_add_f64 v[19:20], v[13:14], v[11:12]
	v_mul_f64 v[21:22], v[19:20], s[16:17]
	v_add_f64 v[13:14], v[19:20], -v[13:14]
	v_fma_f64 v[23:24], v[19:20], s[16:17], -v[21:22]
	v_add_f64 v[11:12], v[11:12], -v[13:14]
	v_fma_f64 v[13:14], v[19:20], s[18:19], v[23:24]
	v_fma_f64 v[13:14], v[11:12], s[16:17], v[13:14]
	v_add_f64 v[11:12], v[21:22], v[13:14]
	v_add_f64 v[19:20], v[11:12], -v[21:22]
	v_add_f64 v[13:14], v[13:14], -v[19:20]
	s_andn2_saveexec_b64 s[4:5], s[4:5]
	s_cbranch_execnz .LBB5_21
	s_branch .LBB5_22
.LBB5_20:
	s_andn2_saveexec_b64 s[4:5], s[4:5]
	s_cbranch_execz .LBB5_22
.LBB5_21:
	s_mov_b32 s16, 0x6dc9c883
	s_mov_b32 s17, 0x3fe45f30
	v_mul_f64 v[11:12], |v[5:6]|, s[16:17]
	s_mov_b32 s16, 0x54442d18
	s_mov_b32 s17, 0xbff921fb
	;; [unrolled: 1-line block ×4, first 2 shown]
	v_rndne_f64_e32 v[19:20], v[11:12]
	v_fma_f64 v[11:12], v[19:20], s[16:17], |v[5:6]|
	v_mul_f64 v[13:14], v[19:20], s[18:19]
	s_mov_b32 s16, 0x252049c0
	s_mov_b32 s17, 0xb97b839a
	v_cvt_i32_f64_e32 v26, v[19:20]
	v_fma_f64 v[28:29], v[19:20], s[18:19], v[11:12]
	v_add_f64 v[21:22], v[11:12], v[13:14]
	s_mov_b32 s19, 0x3c91a626
	v_add_f64 v[23:24], v[11:12], -v[21:22]
	v_add_f64 v[21:22], v[21:22], -v[28:29]
	v_add_f64 v[11:12], v[23:24], v[13:14]
	v_fma_f64 v[13:14], v[19:20], s[18:19], v[13:14]
	v_add_f64 v[11:12], v[21:22], v[11:12]
	v_add_f64 v[11:12], v[11:12], -v[13:14]
	v_fma_f64 v[13:14], v[19:20], s[16:17], v[11:12]
	v_add_f64 v[11:12], v[28:29], v[13:14]
	v_add_f64 v[21:22], v[11:12], -v[28:29]
	v_add_f64 v[13:14], v[13:14], -v[21:22]
.LBB5_22:
	s_or_b64 exec, exec, s[4:5]
	v_mul_f64 v[19:20], v[7:8], v[7:8]
	s_mov_b32 s4, 0
	s_mov_b32 s5, 0x40390000
	;; [unrolled: 1-line block ×7, first 2 shown]
	v_div_scale_f64 v[21:22], s[16:17], v[19:20], v[19:20], s[4:5]
	s_mov_b32 s16, 0x46cc5e42
	s_mov_b32 s17, 0xbda907db
	;; [unrolled: 1-line block ×13, first 2 shown]
	v_mul_f64 v[40:41], v[17:18], 0.5
	v_rcp_f64_e32 v[23:24], v[21:22]
	s_mov_b32 s37, 0xbfc55555
	s_mov_b32 s36, s24
	;; [unrolled: 1-line block ×4, first 2 shown]
	v_fma_f64 v[28:29], -v[21:22], v[23:24], 1.0
	v_fma_f64 v[23:24], v[23:24], v[28:29], v[23:24]
	v_fma_f64 v[28:29], -v[21:22], v[23:24], 1.0
	v_fma_f64 v[23:24], v[23:24], v[28:29], v[23:24]
	v_div_scale_f64 v[28:29], vcc, s[4:5], v[19:20], s[4:5]
	v_mul_f64 v[30:31], v[28:29], v[23:24]
	v_fma_f64 v[21:22], -v[21:22], v[30:31], v[28:29]
	s_nop 1
	v_div_fmas_f64 v[21:22], v[21:22], v[23:24], v[30:31]
	v_mov_b32_e32 v30, 0x413c25ac
	v_mov_b32_e32 v31, 0x40501457
	v_div_fixup_f64 v[21:22], v[21:22], v[19:20], s[4:5]
	v_mov_b32_e32 v19, 0x983b6b27
	v_mov_b32_e32 v20, 0x3f4a1d30
	s_mov_b32 s4, 0xb35dd1cf
	s_mov_b32 s5, 0x3fb534b0
	v_fma_f64 v[19:20], v[21:22], 0, v[19:20]
	v_fma_f64 v[30:31], v[21:22], 0, v[30:31]
	;; [unrolled: 1-line block ×3, first 2 shown]
	s_mov_b32 s4, 0x4e680b98
	s_mov_b32 s5, 0x3ff3d521
	v_fma_f64 v[19:20], v[21:22], v[19:20], s[4:5]
	s_mov_b32 s4, 0xe97a0956
	s_mov_b32 s5, 0x4015c9fb
	v_fma_f64 v[19:20], v[21:22], v[19:20], s[4:5]
	;; [unrolled: 3-line block ×4, first 2 shown]
	v_mov_b32_e32 v19, 0xce039737
	v_mov_b32_e32 v20, 0x3f4e4a80
	v_fma_f64 v[19:20], v[21:22], 0, v[19:20]
	s_mov_b32 s4, 0xab5454e3
	s_mov_b32 s5, 0x3fb5ebc5
	v_fma_f64 v[19:20], v[21:22], v[19:20], s[4:5]
	s_mov_b32 s4, 0xc9b3069f
	s_mov_b32 s5, 0x3ff40e72
	;; [unrolled: 3-line block ×6, first 2 shown]
	v_fma_f64 v[28:29], v[21:22], v[19:20], 1.0
	v_mov_b32_e32 v19, 0x38a5384a
	v_mov_b32_e32 v20, 0xbf874742
	v_fma_f64 v[19:20], v[21:22], 0, v[19:20]
	v_fma_f64 v[19:20], v[21:22], v[19:20], s[4:5]
	s_mov_b32 s4, 0xf50e2c0c
	s_mov_b32 s5, 0xc0338dcf
	v_fma_f64 v[19:20], v[21:22], v[19:20], s[4:5]
	s_mov_b32 s4, 0x5a6de8c4
	s_mov_b32 s5, 0xc0574d2f
	v_fma_f64 v[19:20], v[21:22], v[19:20], s[4:5]
	s_mov_b32 s4, 0x20cae8ea
	s_mov_b32 s5, 0xc06635cc
	v_fma_f64 v[19:20], v[21:22], v[19:20], s[4:5]
	s_mov_b32 s4, 0xec17392d
	s_mov_b32 s5, 0xc062627a
	v_fma_f64 v[19:20], v[21:22], v[19:20], s[4:5]
	s_mov_b32 s4, 0x55b218cd
	s_mov_b32 s5, 0xc049b48c
	v_fma_f64 v[19:20], v[21:22], v[19:20], s[4:5]
	s_mov_b32 s4, 0xd1b9a1dd
	s_mov_b32 s5, 0xc0183358
	v_fma_f64 v[19:20], v[21:22], v[19:20], s[4:5]
	s_mov_b32 s4, 0xb1759c7f
	s_mov_b32 s5, 0x408ac370
	v_fma_f64 v[30:31], v[21:22], v[30:31], s[4:5]
	s_mov_b32 s4, 0xbd748cb5
	s_mov_b32 s5, 0x40ae54cd
	v_fma_f64 v[30:31], v[21:22], v[30:31], s[4:5]
	s_mov_b32 s4, 0xbdefd63e
	s_mov_b32 s5, 0x40bc4877
	v_fma_f64 v[30:31], v[21:22], v[30:31], s[4:5]
	s_mov_b32 s4, 0x1d733b11
	s_mov_b32 s5, 0x40b72aba
	v_fma_f64 v[30:31], v[21:22], v[30:31], s[4:5]
	s_mov_b32 s4, 0xc7319e82
	s_mov_b32 s5, 0x40a01c2f
	v_fma_f64 v[30:31], v[21:22], v[30:31], s[4:5]
	s_mov_b32 s4, 0x6280a54
	s_mov_b32 s5, 0x406e402f
	v_fma_f64 v[30:31], v[21:22], v[30:31], s[4:5]
	v_fma_f64 v[21:22], v[21:22], v[23:24], 1.0
	v_div_scale_f64 v[23:24], s[4:5], v[28:29], v[28:29], v[21:22]
	s_mov_b32 s4, 0x9037ab78
	s_mov_b32 s5, 0x3e21eeb6
	v_rcp_f64_e32 v[32:33], v[23:24]
	v_fma_f64 v[34:35], -v[23:24], v[32:33], 1.0
	v_fma_f64 v[32:33], v[32:33], v[34:35], v[32:33]
	v_fma_f64 v[34:35], -v[23:24], v[32:33], 1.0
	v_fma_f64 v[32:33], v[32:33], v[34:35], v[32:33]
	v_div_scale_f64 v[34:35], vcc, v[21:22], v[28:29], v[21:22]
	v_mul_f64 v[36:37], v[34:35], v[32:33]
	v_fma_f64 v[23:24], -v[23:24], v[36:37], v[34:35]
	s_nop 1
	v_div_fmas_f64 v[23:24], v[23:24], v[32:33], v[36:37]
	v_mov_b32_e32 v37, s5
	v_mov_b32_e32 v36, s4
	s_mov_b32 s4, 0xb42fdfa7
	s_mov_b32 s5, 0xbe5ae600
	v_div_fixup_f64 v[21:22], v[23:24], v[28:29], v[21:22]
	v_mul_f64 v[23:24], v[15:16], v[15:16]
	v_mul_f64 v[28:29], v[23:24], 0.5
	v_fma_f64 v[38:39], v[23:24], s[16:17], v[36:37]
	v_add_f64 v[32:33], -v[28:29], 1.0
	v_fma_f64 v[38:39], v[23:24], v[38:39], s[18:19]
	v_add_f64 v[34:35], -v[32:33], 1.0
	v_fma_f64 v[38:39], v[23:24], v[38:39], s[20:21]
	v_add_f64 v[28:29], v[34:35], -v[28:29]
	v_fma_f64 v[38:39], v[23:24], v[38:39], s[22:23]
	v_mul_f64 v[34:35], v[23:24], v[23:24]
	v_fma_f64 v[28:29], v[15:16], -v[17:18], v[28:29]
	v_fma_f64 v[38:39], v[23:24], v[38:39], s[24:25]
	v_fma_f64 v[28:29], v[34:35], v[38:39], v[28:29]
	v_mul_f64 v[38:39], v[15:16], -v[23:24]
	v_add_f64 v[28:29], v[32:33], v[28:29]
	v_mov_b32_e32 v33, s5
	v_mov_b32_e32 v32, s4
	v_fma_f64 v[34:35], v[23:24], s[26:27], v[32:33]
	s_movk_i32 s4, 0x1f8
	v_cmp_class_f64_e64 s[4:5], v[5:6], s4
	v_fma_f64 v[34:35], v[23:24], v[34:35], s[28:29]
	v_fma_f64 v[34:35], v[23:24], v[34:35], s[30:31]
	;; [unrolled: 1-line block ×4, first 2 shown]
	v_fma_f64 v[17:18], v[23:24], v[34:35], -v[17:18]
	v_fma_f64 v[17:18], v[38:39], s[36:37], v[17:18]
	v_mov_b32_e32 v38, 0x7ff80000
	v_add_f64 v[15:16], v[15:16], -v[17:18]
	v_and_b32_e32 v17, 1, v27
	v_cmp_eq_u32_e32 vcc, 0, v17
	v_lshlrev_b32_e32 v17, 30, v27
	v_xor_b32_e32 v17, v17, v6
	v_and_b32_e32 v17, 0x80000000, v17
	v_cndmask_b32_e32 v16, v29, v16, vcc
	v_cndmask_b32_e32 v15, v28, v15, vcc
	v_xor_b32_e32 v16, v16, v17
	v_cndmask_b32_e64 v5, 0, v15, s[4:5]
	v_cndmask_b32_e64 v6, v38, v16, s[4:5]
	v_div_scale_f64 v[15:16], s[40:41], v[7:8], v[7:8], s[38:39]
	v_rcp_f64_e32 v[17:18], v[15:16]
	v_fma_f64 v[23:24], -v[15:16], v[17:18], 1.0
	v_fma_f64 v[17:18], v[17:18], v[23:24], v[17:18]
	v_fma_f64 v[23:24], -v[15:16], v[17:18], 1.0
	v_fma_f64 v[17:18], v[17:18], v[23:24], v[17:18]
	v_div_scale_f64 v[23:24], vcc, s[38:39], v[7:8], s[38:39]
	v_mul_f64 v[27:28], v[23:24], v[17:18]
	v_fma_f64 v[15:16], -v[15:16], v[27:28], v[23:24]
	s_nop 1
	v_div_fmas_f64 v[15:16], v[15:16], v[17:18], v[27:28]
	v_div_fixup_f64 v[15:16], v[15:16], v[7:8], s[38:39]
	v_div_scale_f64 v[17:18], s[38:39], v[30:31], v[30:31], v[19:20]
	v_rcp_f64_e32 v[23:24], v[17:18]
	v_fma_f64 v[27:28], -v[17:18], v[23:24], 1.0
	v_fma_f64 v[23:24], v[23:24], v[27:28], v[23:24]
	v_fma_f64 v[27:28], -v[17:18], v[23:24], 1.0
	v_fma_f64 v[23:24], v[23:24], v[27:28], v[23:24]
	v_div_scale_f64 v[27:28], vcc, v[19:20], v[30:31], v[19:20]
	v_mul_f64 v[34:35], v[27:28], v[23:24]
	v_fma_f64 v[17:18], -v[17:18], v[34:35], v[27:28]
	s_nop 1
	v_div_fmas_f64 v[17:18], v[17:18], v[23:24], v[34:35]
	v_div_fixup_f64 v[17:18], v[17:18], v[30:31], v[19:20]
	v_mul_f64 v[15:16], v[15:16], v[17:18]
	v_mul_f64 v[17:18], v[11:12], v[11:12]
	v_mul_f64 v[19:20], v[17:18], 0.5
	v_fma_f64 v[29:30], v[17:18], s[16:17], v[36:37]
	v_add_f64 v[23:24], -v[19:20], 1.0
	v_fma_f64 v[29:30], v[17:18], v[29:30], s[18:19]
	v_add_f64 v[27:28], -v[23:24], 1.0
	v_fma_f64 v[29:30], v[17:18], v[29:30], s[20:21]
	v_add_f64 v[19:20], v[27:28], -v[19:20]
	v_fma_f64 v[29:30], v[17:18], v[29:30], s[22:23]
	v_mul_f64 v[27:28], v[17:18], v[17:18]
	v_fma_f64 v[19:20], v[11:12], -v[13:14], v[19:20]
	v_fma_f64 v[29:30], v[17:18], v[29:30], s[24:25]
	v_fma_f64 v[19:20], v[27:28], v[29:30], v[19:20]
	v_mul_f64 v[27:28], v[11:12], -v[17:18]
	v_mul_f64 v[29:30], v[13:14], 0.5
	v_add_f64 v[19:20], v[23:24], v[19:20]
	v_fma_f64 v[23:24], v[17:18], s[26:27], v[32:33]
	v_fma_f64 v[23:24], v[17:18], v[23:24], s[28:29]
	;; [unrolled: 1-line block ×5, first 2 shown]
	v_fma_f64 v[13:14], v[17:18], v[23:24], -v[13:14]
	v_fma_f64 v[13:14], v[27:28], s[36:37], v[13:14]
	v_add_f64 v[11:12], v[11:12], -v[13:14]
	v_and_b32_e32 v13, 1, v26
	v_cmp_eq_u32_e32 vcc, 0, v13
	v_lshlrev_b32_e32 v13, 30, v26
	v_and_b32_e32 v13, 0x80000000, v13
	v_xor_b32_e32 v12, 0x80000000, v12
	v_cndmask_b32_e32 v12, v12, v20, vcc
	v_cndmask_b32_e32 v11, v11, v19, vcc
	v_xor_b32_e32 v12, v12, v13
	v_cndmask_b32_e64 v11, 0, v11, s[4:5]
	v_cndmask_b32_e64 v12, v38, v12, s[4:5]
	v_mul_f64 v[11:12], v[15:16], v[11:12]
	s_mov_b32 s4, 0x33d43651
	s_mov_b32 s5, 0x3fe98845
	v_fma_f64 v[5:6], v[21:22], v[5:6], v[11:12]
	v_mov_b32_e32 v11, 0x100
	v_mul_f64 v[5:6], v[5:6], s[4:5]
	s_mov_b32 s4, 0
	s_brev_b32 s5, 8
	v_cmp_gt_f64_e32 vcc, s[4:5], v[7:8]
	v_cndmask_b32_e32 v11, 0, v11, vcc
	v_ldexp_f64 v[7:8], v[7:8], v11
	v_rsq_f64_e32 v[11:12], v[7:8]
	v_mul_f64 v[13:14], v[7:8], v[11:12]
	v_mul_f64 v[11:12], v[11:12], 0.5
	v_fma_f64 v[15:16], -v[11:12], v[13:14], 0.5
	v_fma_f64 v[13:14], v[13:14], v[15:16], v[13:14]
	v_fma_f64 v[11:12], v[11:12], v[15:16], v[11:12]
	v_fma_f64 v[17:18], -v[13:14], v[13:14], v[7:8]
	v_fma_f64 v[13:14], v[17:18], v[11:12], v[13:14]
	v_fma_f64 v[15:16], -v[13:14], v[13:14], v[7:8]
	v_fma_f64 v[11:12], v[15:16], v[11:12], v[13:14]
	v_mov_b32_e32 v13, 0xffffff80
	v_cndmask_b32_e32 v13, 0, v13, vcc
	v_ldexp_f64 v[11:12], v[11:12], v13
	v_mov_b32_e32 v13, 0x260
	v_cmp_class_f64_e32 vcc, v[7:8], v13
	v_cndmask_b32_e32 v8, v12, v8, vcc
	v_cndmask_b32_e32 v7, v11, v7, vcc
	v_div_scale_f64 v[11:12], s[4:5], v[7:8], v[7:8], v[5:6]
	v_rcp_f64_e32 v[13:14], v[11:12]
	v_fma_f64 v[15:16], -v[11:12], v[13:14], 1.0
	v_fma_f64 v[13:14], v[13:14], v[15:16], v[13:14]
	v_fma_f64 v[15:16], -v[11:12], v[13:14], 1.0
	v_fma_f64 v[13:14], v[13:14], v[15:16], v[13:14]
	v_div_scale_f64 v[15:16], vcc, v[5:6], v[7:8], v[5:6]
	v_mul_f64 v[17:18], v[15:16], v[13:14]
	v_fma_f64 v[11:12], -v[11:12], v[17:18], v[15:16]
	s_nop 1
	v_div_fmas_f64 v[11:12], v[11:12], v[13:14], v[17:18]
	v_div_fixup_f64 v[5:6], v[11:12], v[7:8], v[5:6]
.LBB5_23:
	s_or_b64 exec, exec, s[14:15]
	s_mov_b32 s4, 0
	s_mov_b32 s5, 0x40140000
	v_cmp_ge_f64_e32 vcc, s[4:5], v[9:10]
	s_and_saveexec_b64 s[4:5], vcc
	s_xor_b64 s[4:5], exec, s[4:5]
	s_cbranch_execz .LBB5_33
; %bb.24:
	v_cmp_neq_f64_e32 vcc, 0, v[9:10]
	v_mov_b32_e32 v7, 0
	v_mov_b32_e32 v8, 0xfff00000
	s_and_saveexec_b64 s[14:15], vcc
	s_cbranch_execz .LBB5_32
; %bb.25:
	v_cmp_ngt_f64_e32 vcc, 0, v[9:10]
	v_mov_b32_e32 v7, 0
	v_mov_b32_e32 v8, 0x7ff80000
	s_and_saveexec_b64 s[16:17], vcc
	s_cbranch_execz .LBB5_31
; %bb.26:
	v_mul_f64 v[7:8], v[9:10], v[9:10]
	s_mov_b32 s18, 0x88e368f1
	s_mov_b32 s19, 0x3ee4f8b5
	v_cmp_ngt_f64_e32 vcc, s[18:19], v[9:10]
                                        ; implicit-def: $vgpr11_vgpr12
	v_mul_f64 v[13:14], v[7:8], 0
	s_and_saveexec_b64 s[18:19], vcc
	s_xor_b64 s[18:19], exec, s[18:19]
	s_cbranch_execz .LBB5_28
; %bb.27:
	s_mov_b32 s20, 0xa696b78c
	s_mov_b32 s21, 0x407f3902
	v_add_f64 v[11:12], v[13:14], s[20:21]
	s_mov_b32 s20, 0x36a21a67
	s_mov_b32 s21, 0x410536cb
	;; [unrolled: 1-line block ×7, first 2 shown]
	v_fma_f64 v[11:12], v[7:8], v[11:12], s[20:21]
	s_mov_b32 s20, 0x2eac0634
	s_mov_b32 s21, 0x41871934
	;; [unrolled: 1-line block ×3, first 2 shown]
	v_fma_f64 v[11:12], v[7:8], v[11:12], s[20:21]
	s_mov_b32 s20, 0xad1c8325
	s_mov_b32 s21, 0xc1f1dc53
	v_add_f64 v[15:16], v[13:14], s[20:21]
	s_mov_b32 s20, 0xe0d900f7
	s_mov_b32 s21, 0xc2ec5614
	v_fma_f64 v[11:12], v[7:8], v[11:12], s[24:25]
	s_mov_b32 s24, 0x72182e46
	s_mov_b32 s25, 0x427ebeb3
	v_fma_f64 v[15:16], v[7:8], v[15:16], s[22:23]
	s_mov_b32 s22, 0x80462bbb
	s_mov_b32 s23, 0xc01721fb
	v_add_f64 v[17:18], v[7:8], s[22:23]
	s_mov_b32 s22, 0x69ff5fb4
	v_fma_f64 v[11:12], v[7:8], v[11:12], s[24:25]
	s_mov_b32 s24, 0xa621dd6f
	s_mov_b32 s25, 0xc03e78a4
	v_add_f64 v[19:20], v[7:8], s[24:25]
	v_fma_f64 v[15:16], v[7:8], v[15:16], s[20:21]
	s_mov_b32 s20, 0x7e7b2e9c
	s_mov_b32 s21, 0x435c4141
	;; [unrolled: 1-line block ×3, first 2 shown]
	v_fma_f64 v[11:12], v[7:8], v[11:12], s[26:27]
	v_mul_f64 v[17:18], v[17:18], v[19:20]
	v_fma_f64 v[15:16], v[7:8], v[15:16], s[22:23]
	v_fma_f64 v[11:12], v[7:8], v[11:12], s[20:21]
	s_mov_b32 s20, 0xc7b662cc
	s_mov_b32 s21, 0x43b7be34
	v_mul_f64 v[15:16], v[17:18], v[15:16]
	v_fma_f64 v[11:12], v[7:8], v[11:12], s[20:21]
	v_div_scale_f64 v[17:18], s[20:21], v[11:12], v[11:12], v[15:16]
	v_div_scale_f64 v[23:24], vcc, v[15:16], v[11:12], v[15:16]
	v_rcp_f64_e32 v[19:20], v[17:18]
	v_fma_f64 v[21:22], -v[17:18], v[19:20], 1.0
	v_fma_f64 v[19:20], v[19:20], v[21:22], v[19:20]
	v_fma_f64 v[21:22], -v[17:18], v[19:20], 1.0
	v_fma_f64 v[19:20], v[19:20], v[21:22], v[19:20]
	v_mul_f64 v[21:22], v[23:24], v[19:20]
	v_fma_f64 v[17:18], -v[17:18], v[21:22], v[23:24]
	v_div_fmas_f64 v[17:18], v[17:18], v[19:20], v[21:22]
	v_div_fixup_f64 v[11:12], v[17:18], v[11:12], v[15:16]
.LBB5_28:
	s_andn2_saveexec_b64 s[18:19], s[18:19]
	s_cbranch_execz .LBB5_30
; %bb.29:
	s_mov_b32 s20, 0
	s_mov_b32 s21, 0xbfd00000
	v_fma_f64 v[11:12], v[7:8], s[20:21], 1.0
.LBB5_30:
	s_or_b64 exec, exec, s[18:19]
	v_frexp_mant_f64_e32 v[15:16], v[9:10]
	s_mov_b32 s19, 0x3fe55555
	s_mov_b32 s18, 0x55555555
	;; [unrolled: 1-line block ×7, first 2 shown]
	v_cmp_gt_f64_e32 vcc, s[18:19], v[15:16]
	s_mov_b32 s31, 0x3fcc71c0
	s_mov_b32 s22, 0x32e48896
	;; [unrolled: 1-line block ×7, first 2 shown]
	v_cndmask_b32_e64 v17, 0, 1, vcc
	v_ldexp_f64 v[15:16], v[15:16], v17
	s_mov_b32 s29, 0x42d3ea72
	s_mov_b32 s34, 0x660b4003
	s_mov_b32 s35, 0x4363a94b
	v_add_f64 v[17:18], v[15:16], 1.0
	v_add_f64 v[23:24], v[15:16], -1.0
	v_rcp_f64_e32 v[19:20], v[17:18]
	v_add_f64 v[26:27], v[17:18], -1.0
	v_add_f64 v[15:16], v[15:16], -v[26:27]
	v_fma_f64 v[21:22], -v[17:18], v[19:20], 1.0
	v_fma_f64 v[19:20], v[21:22], v[19:20], v[19:20]
	v_fma_f64 v[21:22], -v[17:18], v[19:20], 1.0
	v_fma_f64 v[19:20], v[21:22], v[19:20], v[19:20]
	v_mul_f64 v[21:22], v[23:24], v[19:20]
	v_mul_f64 v[28:29], v[17:18], v[21:22]
	v_fma_f64 v[17:18], v[21:22], v[17:18], -v[28:29]
	v_fma_f64 v[15:16], v[21:22], v[15:16], v[17:18]
	v_add_f64 v[17:18], v[28:29], v[15:16]
	v_add_f64 v[26:27], v[23:24], -v[17:18]
	v_add_f64 v[28:29], v[17:18], -v[28:29]
	v_add_f64 v[23:24], v[23:24], -v[26:27]
	v_add_f64 v[15:16], v[28:29], -v[15:16]
	v_add_f64 v[17:18], v[23:24], -v[17:18]
	v_mov_b32_e32 v23, 0x6b47b09a
	v_mov_b32_e32 v24, 0x3fc38538
	v_add_f64 v[15:16], v[15:16], v[17:18]
	v_add_f64 v[15:16], v[26:27], v[15:16]
	v_mul_f64 v[15:16], v[19:20], v[15:16]
	v_add_f64 v[17:18], v[21:22], v[15:16]
	v_mul_f64 v[19:20], v[17:18], v[17:18]
	v_fma_f64 v[23:24], v[19:20], s[20:21], v[23:24]
	s_mov_b32 s20, 0xe896898f
	s_mov_b32 s21, 0x40ce7437
	v_add_f64 v[26:27], v[13:14], s[20:21]
	s_mov_b32 s20, 0x9b27acf1
	s_mov_b32 s21, 0x3fd24924
	v_mul_f64 v[28:29], v[17:18], v[19:20]
	v_fma_f64 v[23:24], v[19:20], v[23:24], s[24:25]
	s_mov_b32 s24, 0xf0284cdd
	s_mov_b32 s25, 0x41f43f78
	v_fma_f64 v[26:27], v[7:8], v[26:27], s[22:23]
	s_mov_b32 s22, 0x5164d101
	s_mov_b32 s23, 0x41b00763
	;; [unrolled: 3-line block ×3, first 2 shown]
	v_fma_f64 v[26:27], v[7:8], v[26:27], s[24:25]
	v_fma_f64 v[23:24], v[19:20], v[23:24], s[20:21]
	s_mov_b32 s20, 0x576dfcb6
	s_mov_b32 s21, 0x40904522
	v_add_f64 v[13:14], v[13:14], s[20:21]
	s_mov_b32 s20, 0x998ef7b6
	s_mov_b32 s21, 0x3fd99999
	v_fma_f64 v[23:24], v[19:20], v[23:24], s[20:21]
	s_mov_b32 s20, 0xa907bc0c
	s_mov_b32 s21, 0x41231b76
	v_fma_f64 v[13:14], v[7:8], v[13:14], s[20:21]
	;; [unrolled: 3-line block ×3, first 2 shown]
	v_fma_f64 v[23:24], v[7:8], v[26:27], s[26:27]
	v_ldexp_f64 v[26:27], v[17:18], 1
	v_fma_f64 v[13:14], v[7:8], v[13:14], s[22:23]
	s_mov_b32 s18, 0x2b8664bc
	s_mov_b32 s19, 0x42341ddb
	v_add_f64 v[17:18], v[17:18], -v[21:22]
	s_mov_b32 s22, 0xdfeb596d
	v_mul_f64 v[19:20], v[28:29], v[19:20]
	v_frexp_exp_i32_f64_e32 v28, v[9:10]
	s_mov_b32 s23, 0x43268910
	v_fma_f64 v[9:10], v[7:8], v[13:14], s[18:19]
	v_fma_f64 v[13:14], v[7:8], v[23:24], s[28:29]
	s_mov_b32 s18, 0xfefa39ef
	s_mov_b32 s19, 0x3fe62e42
	v_add_f64 v[15:16], v[15:16], -v[17:18]
	v_add_f64 v[21:22], v[26:27], v[19:20]
	v_subbrev_co_u32_e32 v23, vcc, 0, v28, vcc
	v_cvt_f64_i32_e32 v[23:24], v23
	v_fma_f64 v[9:10], v[7:8], v[9:10], s[20:21]
	v_fma_f64 v[13:14], v[7:8], v[13:14], s[30:31]
	s_mov_b32 s20, 0xbcf9b5d0
	v_mul_f64 v[28:29], v[23:24], s[18:19]
	v_add_f64 v[17:18], v[21:22], -v[26:27]
	v_ldexp_f64 v[15:16], v[15:16], 1
	s_mov_b32 s21, 0x438bd25f
	v_fma_f64 v[9:10], v[7:8], v[9:10], s[22:23]
	v_fma_f64 v[13:14], v[7:8], v[13:14], s[34:35]
	v_fma_f64 v[26:27], v[23:24], s[18:19], -v[28:29]
	v_add_f64 v[17:18], v[19:20], -v[17:18]
	s_mov_b32 s18, 0x5906367b
	s_mov_b32 s19, 0xc3506d4b
	v_fma_f64 v[9:10], v[7:8], v[9:10], s[20:21]
	v_fma_f64 v[7:8], v[7:8], v[13:14], s[18:19]
	s_mov_b32 s18, 0x3b39803f
	s_mov_b32 s19, 0x3c7abc9e
	v_fma_f64 v[13:14], v[23:24], s[18:19], v[26:27]
	v_add_f64 v[15:16], v[15:16], v[17:18]
	v_div_scale_f64 v[17:18], s[18:19], v[9:10], v[9:10], v[7:8]
	s_mov_b32 s18, 0x6dc9c883
	v_add_f64 v[19:20], v[28:29], v[13:14]
	v_add_f64 v[23:24], v[21:22], v[15:16]
	s_mov_b32 s19, 0x3fe45f30
	v_add_f64 v[28:29], v[19:20], -v[28:29]
	v_add_f64 v[26:27], v[19:20], v[23:24]
	v_add_f64 v[21:22], v[23:24], -v[21:22]
	v_rcp_f64_e32 v[30:31], v[17:18]
	v_add_f64 v[13:14], v[13:14], -v[28:29]
	v_add_f64 v[32:33], v[26:27], -v[19:20]
	;; [unrolled: 1-line block ×5, first 2 shown]
	v_add_f64 v[28:29], v[13:14], v[15:16]
	v_fma_f64 v[36:37], -v[17:18], v[30:31], 1.0
	v_add_f64 v[19:20], v[19:20], -v[34:35]
	v_add_f64 v[32:33], v[28:29], -v[13:14]
	v_fma_f64 v[23:24], v[30:31], v[36:37], v[30:31]
	v_div_scale_f64 v[30:31], vcc, v[7:8], v[9:10], v[7:8]
	v_add_f64 v[19:20], v[21:22], v[19:20]
	v_add_f64 v[15:16], v[15:16], -v[32:33]
	v_fma_f64 v[21:22], -v[17:18], v[23:24], 1.0
	v_add_f64 v[19:20], v[28:29], v[19:20]
	v_fma_f64 v[21:22], v[23:24], v[21:22], v[23:24]
	v_add_f64 v[23:24], v[28:29], -v[32:33]
	v_add_f64 v[28:29], v[26:27], v[19:20]
	v_mul_f64 v[34:35], v[30:31], v[21:22]
	v_add_f64 v[13:14], v[13:14], -v[23:24]
	v_add_f64 v[23:24], v[28:29], -v[26:27]
	v_fma_f64 v[17:18], -v[17:18], v[34:35], v[30:31]
	v_add_f64 v[13:14], v[15:16], v[13:14]
	v_add_f64 v[15:16], v[19:20], -v[23:24]
	v_div_fmas_f64 v[17:18], v[17:18], v[21:22], v[34:35]
	v_add_f64 v[13:14], v[13:14], v[15:16]
	v_add_f64 v[13:14], v[28:29], v[13:14]
	v_div_fixup_f64 v[7:8], v[17:18], v[9:10], v[7:8]
	v_mul_f64 v[9:10], v[13:14], s[18:19]
	v_fma_f64 v[7:8], v[9:10], v[11:12], v[7:8]
.LBB5_31:
	s_or_b64 exec, exec, s[16:17]
.LBB5_32:
	s_or_b64 exec, exec, s[14:15]
                                        ; implicit-def: $vgpr9_vgpr10
.LBB5_33:
	s_andn2_saveexec_b64 s[14:15], s[4:5]
	s_cbranch_execz .LBB5_43
; %bb.34:
	s_mov_b32 s19, 0xbfe921fb
	s_mov_b32 s18, 0x54442d18
	v_add_f64 v[7:8], v[9:10], s[18:19]
	s_mov_b32 s4, 0
	s_mov_b32 s5, 0x41d00000
                                        ; implicit-def: $vgpr27
                                        ; implicit-def: $vgpr15_vgpr16
                                        ; implicit-def: $vgpr17_vgpr18
	v_trig_preop_f64 v[23:24], |v[7:8]|, 0
	v_trig_preop_f64 v[21:22], |v[7:8]|, 1
	;; [unrolled: 1-line block ×3, first 2 shown]
	v_cmp_nlt_f64_e64 s[16:17], |v[7:8]|, s[4:5]
	s_and_saveexec_b64 s[4:5], s[16:17]
	s_xor_b64 s[20:21], exec, s[4:5]
	s_cbranch_execz .LBB5_36
; %bb.35:
	s_mov_b32 s4, 0
	s_mov_b32 s5, 0x7b000000
	s_movk_i32 s19, 0xff80
	v_ldexp_f64 v[11:12], |v[7:8]|, s19
	v_cmp_ge_f64_e64 vcc, |v[7:8]|, s[4:5]
	v_and_b32_e32 v13, 0x7fffffff, v8
	s_mov_b32 s4, 0
	s_mov_b32 s5, 0x7ff00000
	v_mov_b32_e32 v39, 0x40100000
	v_mov_b32_e32 v38, 0
	s_mov_b32 s19, 0x3ff921fb
	v_cndmask_b32_e32 v12, v13, v12, vcc
	v_cndmask_b32_e32 v11, v7, v11, vcc
	v_mul_f64 v[13:14], v[23:24], v[11:12]
	v_mul_f64 v[15:16], v[21:22], v[11:12]
	;; [unrolled: 1-line block ×3, first 2 shown]
	v_fma_f64 v[17:18], v[23:24], v[11:12], -v[13:14]
	v_fma_f64 v[34:35], v[21:22], v[11:12], -v[15:16]
	v_fma_f64 v[11:12], v[19:20], v[11:12], -v[32:33]
	v_add_f64 v[26:27], v[15:16], v[17:18]
	v_add_f64 v[28:29], v[26:27], -v[15:16]
	v_add_f64 v[36:37], v[13:14], v[26:27]
	v_add_f64 v[30:31], v[26:27], -v[28:29]
	v_add_f64 v[17:18], v[17:18], -v[28:29]
	v_add_f64 v[28:29], v[32:33], v[34:35]
	v_add_f64 v[13:14], v[36:37], -v[13:14]
	v_add_f64 v[15:16], v[15:16], -v[30:31]
	v_ldexp_f64 v[30:31], v[36:37], -2
	v_add_f64 v[40:41], v[28:29], -v[32:33]
	v_add_f64 v[13:14], v[26:27], -v[13:14]
	v_add_f64 v[15:16], v[17:18], v[15:16]
	v_fract_f64_e32 v[17:18], v[30:31]
	v_cmp_neq_f64_e64 vcc, |v[30:31]|, s[4:5]
	v_add_f64 v[34:35], v[34:35], -v[40:41]
	v_add_f64 v[26:27], v[28:29], v[15:16]
	v_ldexp_f64 v[17:18], v[17:18], 2
	v_add_f64 v[30:31], v[13:14], v[26:27]
	v_cndmask_b32_e32 v18, 0, v18, vcc
	v_cndmask_b32_e32 v17, 0, v17, vcc
	v_add_f64 v[42:43], v[26:27], -v[28:29]
	v_add_f64 v[36:37], v[30:31], v[17:18]
	v_add_f64 v[13:14], v[30:31], -v[13:14]
	v_add_f64 v[44:45], v[26:27], -v[42:43]
	;; [unrolled: 1-line block ×3, first 2 shown]
	v_cmp_gt_f64_e32 vcc, 0, v[36:37]
	v_add_f64 v[36:37], v[28:29], -v[40:41]
	v_add_f64 v[13:14], v[26:27], -v[13:14]
	;; [unrolled: 1-line block ×3, first 2 shown]
	v_cndmask_b32_e32 v39, 0, v39, vcc
	v_add_f64 v[17:18], v[17:18], v[38:39]
	v_add_f64 v[36:37], v[32:33], -v[36:37]
	v_add_f64 v[15:16], v[15:16], v[28:29]
	v_add_f64 v[46:47], v[30:31], v[17:18]
	;; [unrolled: 1-line block ×3, first 2 shown]
	v_cvt_i32_f64_e32 v41, v[46:47]
	v_add_f64 v[15:16], v[34:35], v[15:16]
	v_cvt_f64_i32_e32 v[39:40], v41
	v_add_f64 v[17:18], v[17:18], -v[39:40]
	v_add_f64 v[11:12], v[11:12], v[15:16]
	v_add_f64 v[28:29], v[30:31], v[17:18]
	;; [unrolled: 1-line block ×3, first 2 shown]
	v_add_f64 v[15:16], v[28:29], -v[17:18]
	v_cmp_le_f64_e32 vcc, 0.5, v[28:29]
	v_add_f64 v[13:14], v[30:31], -v[15:16]
	v_mov_b32_e32 v15, 0x3ff00000
	v_cndmask_b32_e32 v39, 0, v15, vcc
	v_addc_co_u32_e64 v27, s[4:5], 0, v41, vcc
	s_mov_b32 s4, 0x33145c07
	s_mov_b32 s5, 0x3c91a626
	v_add_f64 v[11:12], v[11:12], v[13:14]
	v_add_f64 v[13:14], v[28:29], -v[38:39]
	v_add_f64 v[15:16], v[13:14], v[11:12]
	v_mul_f64 v[17:18], v[15:16], s[18:19]
	v_add_f64 v[13:14], v[15:16], -v[13:14]
	v_fma_f64 v[28:29], v[15:16], s[18:19], -v[17:18]
	v_add_f64 v[11:12], v[11:12], -v[13:14]
	v_fma_f64 v[13:14], v[15:16], s[4:5], v[28:29]
	v_fma_f64 v[11:12], v[11:12], s[18:19], v[13:14]
	v_add_f64 v[15:16], v[17:18], v[11:12]
	v_add_f64 v[13:14], v[15:16], -v[17:18]
	v_add_f64 v[17:18], v[11:12], -v[13:14]
	s_andn2_saveexec_b64 s[4:5], s[20:21]
	s_cbranch_execz .LBB5_38
	s_branch .LBB5_37
.LBB5_36:
	s_andn2_saveexec_b64 s[4:5], s[20:21]
	s_cbranch_execz .LBB5_38
.LBB5_37:
	s_mov_b32 s18, 0x6dc9c883
	s_mov_b32 s19, 0x3fe45f30
	v_mul_f64 v[11:12], |v[7:8]|, s[18:19]
	s_mov_b32 s18, 0x54442d18
	s_mov_b32 s19, 0xbff921fb
	;; [unrolled: 1-line block ×4, first 2 shown]
	v_rndne_f64_e32 v[11:12], v[11:12]
	v_fma_f64 v[13:14], v[11:12], s[18:19], |v[7:8]|
	v_mul_f64 v[15:16], v[11:12], s[20:21]
	s_mov_b32 s18, 0x252049c0
	s_mov_b32 s19, 0xb97b839a
	v_add_f64 v[17:18], v[13:14], v[15:16]
	v_add_f64 v[26:27], v[13:14], -v[17:18]
	v_fma_f64 v[13:14], v[11:12], s[20:21], v[13:14]
	s_mov_b32 s21, 0x3c91a626
	v_add_f64 v[26:27], v[26:27], v[15:16]
	v_add_f64 v[17:18], v[17:18], -v[13:14]
	v_fma_f64 v[15:16], v[11:12], s[20:21], v[15:16]
	v_add_f64 v[17:18], v[17:18], v[26:27]
	v_cvt_i32_f64_e32 v27, v[11:12]
	v_add_f64 v[15:16], v[17:18], -v[15:16]
	v_fma_f64 v[17:18], v[11:12], s[18:19], v[15:16]
	v_add_f64 v[15:16], v[13:14], v[17:18]
	v_add_f64 v[13:14], v[15:16], -v[13:14]
	v_add_f64 v[17:18], v[17:18], -v[13:14]
.LBB5_38:
	s_or_b64 exec, exec, s[4:5]
                                        ; implicit-def: $vgpr26
                                        ; implicit-def: $vgpr11_vgpr12
                                        ; implicit-def: $vgpr13_vgpr14
	s_and_saveexec_b64 s[4:5], s[16:17]
	s_xor_b64 s[16:17], exec, s[4:5]
	s_cbranch_execz .LBB5_40
; %bb.39:
	s_mov_b32 s4, 0
	s_mov_b32 s5, 0x7b000000
	s_movk_i32 s18, 0xff80
	v_ldexp_f64 v[11:12], |v[7:8]|, s18
	v_cmp_ge_f64_e64 vcc, |v[7:8]|, s[4:5]
	v_and_b32_e32 v13, 0x7fffffff, v8
	s_mov_b32 s4, 0
	s_mov_b32 s5, 0x7ff00000
	v_mov_b32_e32 v26, 0x40100000
	v_mov_b32_e32 v40, 0
	s_mov_b32 s18, 0x33145c07
	s_mov_b32 s19, 0x3c91a626
	v_cndmask_b32_e32 v12, v13, v12, vcc
	v_cndmask_b32_e32 v11, v7, v11, vcc
	v_mul_f64 v[13:14], v[23:24], v[11:12]
	v_mul_f64 v[28:29], v[21:22], v[11:12]
	;; [unrolled: 1-line block ×3, first 2 shown]
	v_fma_f64 v[23:24], v[23:24], v[11:12], -v[13:14]
	v_fma_f64 v[21:22], v[21:22], v[11:12], -v[28:29]
	;; [unrolled: 1-line block ×3, first 2 shown]
	v_add_f64 v[30:31], v[28:29], v[23:24]
	v_add_f64 v[32:33], v[30:31], -v[28:29]
	v_add_f64 v[38:39], v[13:14], v[30:31]
	v_add_f64 v[34:35], v[30:31], -v[32:33]
	v_add_f64 v[23:24], v[23:24], -v[32:33]
	v_add_f64 v[32:33], v[36:37], v[21:22]
	v_add_f64 v[13:14], v[38:39], -v[13:14]
	v_add_f64 v[28:29], v[28:29], -v[34:35]
	v_ldexp_f64 v[34:35], v[38:39], -2
	v_add_f64 v[42:43], v[32:33], -v[36:37]
	v_add_f64 v[13:14], v[30:31], -v[13:14]
	v_add_f64 v[23:24], v[23:24], v[28:29]
	v_fract_f64_e32 v[28:29], v[34:35]
	v_cmp_neq_f64_e64 vcc, |v[34:35]|, s[4:5]
	v_add_f64 v[21:22], v[21:22], -v[42:43]
	v_add_f64 v[30:31], v[32:33], v[23:24]
	v_ldexp_f64 v[28:29], v[28:29], 2
	v_add_f64 v[34:35], v[13:14], v[30:31]
	v_cndmask_b32_e32 v29, 0, v29, vcc
	v_cndmask_b32_e32 v28, 0, v28, vcc
	v_add_f64 v[44:45], v[30:31], -v[32:33]
	v_add_f64 v[38:39], v[34:35], v[28:29]
	v_add_f64 v[13:14], v[34:35], -v[13:14]
	v_add_f64 v[46:47], v[30:31], -v[44:45]
	v_add_f64 v[23:24], v[23:24], -v[44:45]
	v_cmp_gt_f64_e32 vcc, 0, v[38:39]
	v_add_f64 v[38:39], v[32:33], -v[42:43]
	v_add_f64 v[13:14], v[30:31], -v[13:14]
	;; [unrolled: 1-line block ×3, first 2 shown]
	v_cndmask_b32_e32 v41, 0, v26, vcc
	v_add_f64 v[28:29], v[28:29], v[40:41]
	v_add_f64 v[38:39], v[36:37], -v[38:39]
	v_add_f64 v[23:24], v[23:24], v[32:33]
	v_add_f64 v[48:49], v[34:35], v[28:29]
	v_add_f64 v[21:22], v[21:22], v[38:39]
	v_cvt_i32_f64_e32 v26, v[48:49]
	v_add_f64 v[19:20], v[21:22], v[23:24]
	v_cvt_f64_i32_e32 v[41:42], v26
	v_add_f64 v[28:29], v[28:29], -v[41:42]
	v_add_f64 v[11:12], v[11:12], v[19:20]
	v_add_f64 v[21:22], v[34:35], v[28:29]
	;; [unrolled: 1-line block ×3, first 2 shown]
	v_add_f64 v[19:20], v[21:22], -v[28:29]
	v_cmp_le_f64_e32 vcc, 0.5, v[21:22]
	v_add_f64 v[13:14], v[34:35], -v[19:20]
	v_mov_b32_e32 v19, 0x3ff00000
	v_cndmask_b32_e32 v41, 0, v19, vcc
	v_addc_co_u32_e64 v26, s[4:5], 0, v26, vcc
	s_mov_b32 s4, 0x54442d18
	s_mov_b32 s5, 0x3ff921fb
	v_add_f64 v[11:12], v[11:12], v[13:14]
	v_add_f64 v[13:14], v[21:22], -v[40:41]
	v_add_f64 v[19:20], v[13:14], v[11:12]
	v_mul_f64 v[21:22], v[19:20], s[4:5]
	v_add_f64 v[13:14], v[19:20], -v[13:14]
	v_fma_f64 v[23:24], v[19:20], s[4:5], -v[21:22]
	v_add_f64 v[11:12], v[11:12], -v[13:14]
	v_fma_f64 v[13:14], v[19:20], s[18:19], v[23:24]
	v_fma_f64 v[13:14], v[11:12], s[4:5], v[13:14]
	v_add_f64 v[11:12], v[21:22], v[13:14]
	v_add_f64 v[19:20], v[11:12], -v[21:22]
	v_add_f64 v[13:14], v[13:14], -v[19:20]
	s_andn2_saveexec_b64 s[4:5], s[16:17]
	s_cbranch_execnz .LBB5_41
	s_branch .LBB5_42
.LBB5_40:
	s_andn2_saveexec_b64 s[4:5], s[16:17]
	s_cbranch_execz .LBB5_42
.LBB5_41:
	s_mov_b32 s16, 0x6dc9c883
	s_mov_b32 s17, 0x3fe45f30
	v_mul_f64 v[11:12], |v[7:8]|, s[16:17]
	s_mov_b32 s16, 0x54442d18
	s_mov_b32 s17, 0xbff921fb
	;; [unrolled: 1-line block ×4, first 2 shown]
	v_rndne_f64_e32 v[19:20], v[11:12]
	v_fma_f64 v[11:12], v[19:20], s[16:17], |v[7:8]|
	v_mul_f64 v[13:14], v[19:20], s[18:19]
	s_mov_b32 s16, 0x252049c0
	s_mov_b32 s17, 0xb97b839a
	v_cvt_i32_f64_e32 v26, v[19:20]
	v_fma_f64 v[28:29], v[19:20], s[18:19], v[11:12]
	v_add_f64 v[21:22], v[11:12], v[13:14]
	s_mov_b32 s19, 0x3c91a626
	v_add_f64 v[23:24], v[11:12], -v[21:22]
	v_add_f64 v[21:22], v[21:22], -v[28:29]
	v_add_f64 v[11:12], v[23:24], v[13:14]
	v_fma_f64 v[13:14], v[19:20], s[18:19], v[13:14]
	v_add_f64 v[11:12], v[21:22], v[11:12]
	v_add_f64 v[11:12], v[11:12], -v[13:14]
	v_fma_f64 v[13:14], v[19:20], s[16:17], v[11:12]
	v_add_f64 v[11:12], v[28:29], v[13:14]
	v_add_f64 v[21:22], v[11:12], -v[28:29]
	v_add_f64 v[13:14], v[13:14], -v[21:22]
.LBB5_42:
	s_or_b64 exec, exec, s[4:5]
	v_mul_f64 v[19:20], v[9:10], v[9:10]
	s_mov_b32 s4, 0
	s_mov_b32 s5, 0x40390000
	s_mov_b32 s18, 0xa17f65f6
	s_mov_b32 s19, 0xbe927e4f
	s_mov_b32 s20, 0x19f4ec90
	s_mov_b32 s21, 0x3efa01a0
	s_mov_b32 s22, 0x16c16967
	v_div_scale_f64 v[21:22], s[16:17], v[19:20], v[19:20], s[4:5]
	s_mov_b32 s16, 0x46cc5e42
	s_mov_b32 s17, 0xbda907db
	;; [unrolled: 1-line block ×13, first 2 shown]
	v_mul_f64 v[40:41], v[17:18], 0.5
	v_rcp_f64_e32 v[23:24], v[21:22]
	s_mov_b32 s37, 0xbfc55555
	s_mov_b32 s36, s24
	;; [unrolled: 1-line block ×4, first 2 shown]
	v_fma_f64 v[28:29], -v[21:22], v[23:24], 1.0
	v_fma_f64 v[23:24], v[23:24], v[28:29], v[23:24]
	v_fma_f64 v[28:29], -v[21:22], v[23:24], 1.0
	v_fma_f64 v[23:24], v[23:24], v[28:29], v[23:24]
	v_div_scale_f64 v[28:29], vcc, s[4:5], v[19:20], s[4:5]
	v_mul_f64 v[30:31], v[28:29], v[23:24]
	v_fma_f64 v[21:22], -v[21:22], v[30:31], v[28:29]
	s_nop 1
	v_div_fmas_f64 v[21:22], v[21:22], v[23:24], v[30:31]
	v_mov_b32_e32 v30, 0x413c25ac
	v_mov_b32_e32 v31, 0x40501457
	v_div_fixup_f64 v[21:22], v[21:22], v[19:20], s[4:5]
	v_mov_b32_e32 v19, 0x983b6b27
	v_mov_b32_e32 v20, 0x3f4a1d30
	s_mov_b32 s4, 0xb35dd1cf
	s_mov_b32 s5, 0x3fb534b0
	v_fma_f64 v[19:20], v[21:22], 0, v[19:20]
	v_fma_f64 v[30:31], v[21:22], 0, v[30:31]
	;; [unrolled: 1-line block ×3, first 2 shown]
	s_mov_b32 s4, 0x4e680b98
	s_mov_b32 s5, 0x3ff3d521
	v_fma_f64 v[19:20], v[21:22], v[19:20], s[4:5]
	s_mov_b32 s4, 0xe97a0956
	s_mov_b32 s5, 0x4015c9fb
	v_fma_f64 v[19:20], v[21:22], v[19:20], s[4:5]
	;; [unrolled: 3-line block ×4, first 2 shown]
	v_mov_b32_e32 v19, 0xce039737
	v_mov_b32_e32 v20, 0x3f4e4a80
	v_fma_f64 v[19:20], v[21:22], 0, v[19:20]
	s_mov_b32 s4, 0xab5454e3
	s_mov_b32 s5, 0x3fb5ebc5
	v_fma_f64 v[19:20], v[21:22], v[19:20], s[4:5]
	s_mov_b32 s4, 0xc9b3069f
	s_mov_b32 s5, 0x3ff40e72
	;; [unrolled: 3-line block ×6, first 2 shown]
	v_fma_f64 v[28:29], v[21:22], v[19:20], 1.0
	v_mov_b32_e32 v19, 0x38a5384a
	v_mov_b32_e32 v20, 0xbf874742
	v_fma_f64 v[19:20], v[21:22], 0, v[19:20]
	v_fma_f64 v[19:20], v[21:22], v[19:20], s[4:5]
	s_mov_b32 s4, 0xf50e2c0c
	s_mov_b32 s5, 0xc0338dcf
	v_fma_f64 v[19:20], v[21:22], v[19:20], s[4:5]
	s_mov_b32 s4, 0x5a6de8c4
	s_mov_b32 s5, 0xc0574d2f
	;; [unrolled: 3-line block ×12, first 2 shown]
	v_fma_f64 v[30:31], v[21:22], v[30:31], s[4:5]
	v_fma_f64 v[21:22], v[21:22], v[23:24], 1.0
	v_div_scale_f64 v[23:24], s[4:5], v[28:29], v[28:29], v[21:22]
	s_mov_b32 s4, 0x9037ab78
	s_mov_b32 s5, 0x3e21eeb6
	v_rcp_f64_e32 v[32:33], v[23:24]
	v_fma_f64 v[34:35], -v[23:24], v[32:33], 1.0
	v_fma_f64 v[32:33], v[32:33], v[34:35], v[32:33]
	v_fma_f64 v[34:35], -v[23:24], v[32:33], 1.0
	v_fma_f64 v[32:33], v[32:33], v[34:35], v[32:33]
	v_div_scale_f64 v[34:35], vcc, v[21:22], v[28:29], v[21:22]
	v_mul_f64 v[36:37], v[34:35], v[32:33]
	v_fma_f64 v[23:24], -v[23:24], v[36:37], v[34:35]
	s_nop 1
	v_div_fmas_f64 v[23:24], v[23:24], v[32:33], v[36:37]
	v_mov_b32_e32 v37, s5
	v_mov_b32_e32 v36, s4
	s_mov_b32 s4, 0xb42fdfa7
	s_mov_b32 s5, 0xbe5ae600
	v_div_fixup_f64 v[21:22], v[23:24], v[28:29], v[21:22]
	v_mul_f64 v[23:24], v[15:16], v[15:16]
	v_mul_f64 v[28:29], v[23:24], 0.5
	v_fma_f64 v[38:39], v[23:24], s[16:17], v[36:37]
	v_add_f64 v[32:33], -v[28:29], 1.0
	v_fma_f64 v[38:39], v[23:24], v[38:39], s[18:19]
	v_add_f64 v[34:35], -v[32:33], 1.0
	v_fma_f64 v[38:39], v[23:24], v[38:39], s[20:21]
	v_add_f64 v[28:29], v[34:35], -v[28:29]
	v_fma_f64 v[38:39], v[23:24], v[38:39], s[22:23]
	v_mul_f64 v[34:35], v[23:24], v[23:24]
	v_fma_f64 v[28:29], v[15:16], -v[17:18], v[28:29]
	v_fma_f64 v[38:39], v[23:24], v[38:39], s[24:25]
	v_fma_f64 v[28:29], v[34:35], v[38:39], v[28:29]
	v_mul_f64 v[38:39], v[15:16], -v[23:24]
	v_add_f64 v[28:29], v[32:33], v[28:29]
	v_mov_b32_e32 v33, s5
	v_mov_b32_e32 v32, s4
	v_fma_f64 v[34:35], v[23:24], s[26:27], v[32:33]
	s_movk_i32 s4, 0x1f8
	v_cmp_class_f64_e64 s[4:5], v[7:8], s4
	v_fma_f64 v[34:35], v[23:24], v[34:35], s[28:29]
	v_fma_f64 v[34:35], v[23:24], v[34:35], s[30:31]
	;; [unrolled: 1-line block ×4, first 2 shown]
	v_fma_f64 v[17:18], v[23:24], v[34:35], -v[17:18]
	v_fma_f64 v[17:18], v[38:39], s[36:37], v[17:18]
	v_mov_b32_e32 v38, 0x7ff80000
	v_add_f64 v[15:16], v[15:16], -v[17:18]
	v_and_b32_e32 v17, 1, v27
	v_cmp_eq_u32_e32 vcc, 0, v17
	v_lshlrev_b32_e32 v17, 30, v27
	v_xor_b32_e32 v17, v17, v8
	v_and_b32_e32 v17, 0x80000000, v17
	v_cndmask_b32_e32 v16, v29, v16, vcc
	v_cndmask_b32_e32 v15, v28, v15, vcc
	v_xor_b32_e32 v16, v16, v17
	v_cndmask_b32_e64 v7, 0, v15, s[4:5]
	v_cndmask_b32_e64 v8, v38, v16, s[4:5]
	v_div_scale_f64 v[15:16], s[40:41], v[9:10], v[9:10], s[38:39]
	v_rcp_f64_e32 v[17:18], v[15:16]
	v_fma_f64 v[23:24], -v[15:16], v[17:18], 1.0
	v_fma_f64 v[17:18], v[17:18], v[23:24], v[17:18]
	v_fma_f64 v[23:24], -v[15:16], v[17:18], 1.0
	v_fma_f64 v[17:18], v[17:18], v[23:24], v[17:18]
	v_div_scale_f64 v[23:24], vcc, s[38:39], v[9:10], s[38:39]
	v_mul_f64 v[27:28], v[23:24], v[17:18]
	v_fma_f64 v[15:16], -v[15:16], v[27:28], v[23:24]
	s_nop 1
	v_div_fmas_f64 v[15:16], v[15:16], v[17:18], v[27:28]
	v_div_fixup_f64 v[15:16], v[15:16], v[9:10], s[38:39]
	v_div_scale_f64 v[17:18], s[38:39], v[30:31], v[30:31], v[19:20]
	v_rcp_f64_e32 v[23:24], v[17:18]
	v_fma_f64 v[27:28], -v[17:18], v[23:24], 1.0
	v_fma_f64 v[23:24], v[23:24], v[27:28], v[23:24]
	v_fma_f64 v[27:28], -v[17:18], v[23:24], 1.0
	v_fma_f64 v[23:24], v[23:24], v[27:28], v[23:24]
	v_div_scale_f64 v[27:28], vcc, v[19:20], v[30:31], v[19:20]
	v_mul_f64 v[34:35], v[27:28], v[23:24]
	v_fma_f64 v[17:18], -v[17:18], v[34:35], v[27:28]
	s_nop 1
	v_div_fmas_f64 v[17:18], v[17:18], v[23:24], v[34:35]
	v_div_fixup_f64 v[17:18], v[17:18], v[30:31], v[19:20]
	v_mul_f64 v[15:16], v[15:16], v[17:18]
	v_mul_f64 v[17:18], v[11:12], v[11:12]
	v_mul_f64 v[19:20], v[17:18], 0.5
	v_fma_f64 v[29:30], v[17:18], s[16:17], v[36:37]
	v_add_f64 v[23:24], -v[19:20], 1.0
	v_fma_f64 v[29:30], v[17:18], v[29:30], s[18:19]
	v_add_f64 v[27:28], -v[23:24], 1.0
	v_fma_f64 v[29:30], v[17:18], v[29:30], s[20:21]
	v_add_f64 v[19:20], v[27:28], -v[19:20]
	v_fma_f64 v[29:30], v[17:18], v[29:30], s[22:23]
	v_mul_f64 v[27:28], v[17:18], v[17:18]
	v_fma_f64 v[19:20], v[11:12], -v[13:14], v[19:20]
	v_fma_f64 v[29:30], v[17:18], v[29:30], s[24:25]
	v_fma_f64 v[19:20], v[27:28], v[29:30], v[19:20]
	v_mul_f64 v[27:28], v[11:12], -v[17:18]
	v_mul_f64 v[29:30], v[13:14], 0.5
	v_add_f64 v[19:20], v[23:24], v[19:20]
	v_fma_f64 v[23:24], v[17:18], s[26:27], v[32:33]
	v_fma_f64 v[23:24], v[17:18], v[23:24], s[28:29]
	;; [unrolled: 1-line block ×5, first 2 shown]
	v_fma_f64 v[13:14], v[17:18], v[23:24], -v[13:14]
	v_fma_f64 v[13:14], v[27:28], s[36:37], v[13:14]
	v_add_f64 v[11:12], v[11:12], -v[13:14]
	v_and_b32_e32 v13, 1, v26
	v_cmp_eq_u32_e32 vcc, 0, v13
	v_lshlrev_b32_e32 v13, 30, v26
	v_and_b32_e32 v13, 0x80000000, v13
	v_xor_b32_e32 v12, 0x80000000, v12
	v_cndmask_b32_e32 v12, v12, v20, vcc
	v_cndmask_b32_e32 v11, v11, v19, vcc
	v_xor_b32_e32 v12, v12, v13
	v_cndmask_b32_e64 v11, 0, v11, s[4:5]
	v_cndmask_b32_e64 v12, v38, v12, s[4:5]
	v_mul_f64 v[11:12], v[15:16], v[11:12]
	s_mov_b32 s4, 0x33d43651
	s_mov_b32 s5, 0x3fe98845
	v_fma_f64 v[7:8], v[21:22], v[7:8], v[11:12]
	v_mov_b32_e32 v11, 0x100
	v_mul_f64 v[7:8], v[7:8], s[4:5]
	s_mov_b32 s4, 0
	s_brev_b32 s5, 8
	v_cmp_gt_f64_e32 vcc, s[4:5], v[9:10]
	v_cndmask_b32_e32 v11, 0, v11, vcc
	v_ldexp_f64 v[9:10], v[9:10], v11
	v_rsq_f64_e32 v[11:12], v[9:10]
	v_mul_f64 v[13:14], v[9:10], v[11:12]
	v_mul_f64 v[11:12], v[11:12], 0.5
	v_fma_f64 v[15:16], -v[11:12], v[13:14], 0.5
	v_fma_f64 v[13:14], v[13:14], v[15:16], v[13:14]
	v_fma_f64 v[11:12], v[11:12], v[15:16], v[11:12]
	v_fma_f64 v[17:18], -v[13:14], v[13:14], v[9:10]
	v_fma_f64 v[13:14], v[17:18], v[11:12], v[13:14]
	v_fma_f64 v[15:16], -v[13:14], v[13:14], v[9:10]
	v_fma_f64 v[11:12], v[15:16], v[11:12], v[13:14]
	v_mov_b32_e32 v13, 0xffffff80
	v_cndmask_b32_e32 v13, 0, v13, vcc
	v_ldexp_f64 v[11:12], v[11:12], v13
	v_mov_b32_e32 v13, 0x260
	v_cmp_class_f64_e32 vcc, v[9:10], v13
	v_cndmask_b32_e32 v10, v12, v10, vcc
	v_cndmask_b32_e32 v9, v11, v9, vcc
	v_div_scale_f64 v[11:12], s[4:5], v[9:10], v[9:10], v[7:8]
	v_rcp_f64_e32 v[13:14], v[11:12]
	v_fma_f64 v[15:16], -v[11:12], v[13:14], 1.0
	v_fma_f64 v[13:14], v[13:14], v[15:16], v[13:14]
	v_fma_f64 v[15:16], -v[11:12], v[13:14], 1.0
	v_fma_f64 v[13:14], v[13:14], v[15:16], v[13:14]
	v_div_scale_f64 v[15:16], vcc, v[7:8], v[9:10], v[7:8]
	v_mul_f64 v[17:18], v[15:16], v[13:14]
	v_fma_f64 v[11:12], -v[11:12], v[17:18], v[15:16]
	s_nop 1
	v_div_fmas_f64 v[11:12], v[11:12], v[13:14], v[17:18]
	v_div_fixup_f64 v[7:8], v[11:12], v[9:10], v[7:8]
.LBB5_43:
	s_or_b64 exec, exec, s[14:15]
	s_mov_b32 s4, 0
	s_mov_b32 s5, 0x40140000
	s_waitcnt vmcnt(0)
	v_cmp_ge_f64_e32 vcc, s[4:5], v[1:2]
                                        ; implicit-def: $vgpr9_vgpr10
	s_and_saveexec_b64 s[4:5], vcc
	s_xor_b64 s[4:5], exec, s[4:5]
	s_cbranch_execz .LBB5_53
; %bb.44:
	v_cmp_neq_f64_e32 vcc, 0, v[1:2]
	v_mov_b32_e32 v9, 0
	v_mov_b32_e32 v10, 0xfff00000
	s_and_saveexec_b64 s[14:15], vcc
	s_cbranch_execz .LBB5_52
; %bb.45:
	v_cmp_ngt_f64_e32 vcc, 0, v[1:2]
	v_mov_b32_e32 v9, 0
	v_mov_b32_e32 v10, 0x7ff80000
	s_and_saveexec_b64 s[16:17], vcc
	s_cbranch_execz .LBB5_51
; %bb.46:
	v_mul_f64 v[9:10], v[1:2], v[1:2]
	s_mov_b32 s18, 0x88e368f1
	s_mov_b32 s19, 0x3ee4f8b5
	v_cmp_ngt_f64_e32 vcc, s[18:19], v[1:2]
                                        ; implicit-def: $vgpr11_vgpr12
	v_mul_f64 v[13:14], v[9:10], 0
	s_and_saveexec_b64 s[18:19], vcc
	s_xor_b64 s[18:19], exec, s[18:19]
	s_cbranch_execz .LBB5_48
; %bb.47:
	s_mov_b32 s20, 0xa696b78c
	s_mov_b32 s21, 0x407f3902
	v_add_f64 v[11:12], v[13:14], s[20:21]
	s_mov_b32 s20, 0x36a21a67
	s_mov_b32 s21, 0x410536cb
	;; [unrolled: 1-line block ×7, first 2 shown]
	v_fma_f64 v[11:12], v[9:10], v[11:12], s[20:21]
	s_mov_b32 s20, 0x2eac0634
	s_mov_b32 s21, 0x41871934
	;; [unrolled: 1-line block ×3, first 2 shown]
	v_fma_f64 v[11:12], v[9:10], v[11:12], s[20:21]
	s_mov_b32 s20, 0xad1c8325
	s_mov_b32 s21, 0xc1f1dc53
	v_add_f64 v[15:16], v[13:14], s[20:21]
	s_mov_b32 s20, 0xe0d900f7
	s_mov_b32 s21, 0xc2ec5614
	v_fma_f64 v[11:12], v[9:10], v[11:12], s[24:25]
	s_mov_b32 s24, 0x72182e46
	s_mov_b32 s25, 0x427ebeb3
	v_fma_f64 v[15:16], v[9:10], v[15:16], s[22:23]
	s_mov_b32 s22, 0x80462bbb
	s_mov_b32 s23, 0xc01721fb
	v_add_f64 v[17:18], v[9:10], s[22:23]
	s_mov_b32 s22, 0x69ff5fb4
	v_fma_f64 v[11:12], v[9:10], v[11:12], s[24:25]
	s_mov_b32 s24, 0xa621dd6f
	s_mov_b32 s25, 0xc03e78a4
	v_add_f64 v[19:20], v[9:10], s[24:25]
	v_fma_f64 v[15:16], v[9:10], v[15:16], s[20:21]
	s_mov_b32 s20, 0x7e7b2e9c
	s_mov_b32 s21, 0x435c4141
	;; [unrolled: 1-line block ×3, first 2 shown]
	v_fma_f64 v[11:12], v[9:10], v[11:12], s[26:27]
	v_mul_f64 v[17:18], v[17:18], v[19:20]
	v_fma_f64 v[15:16], v[9:10], v[15:16], s[22:23]
	v_fma_f64 v[11:12], v[9:10], v[11:12], s[20:21]
	s_mov_b32 s20, 0xc7b662cc
	s_mov_b32 s21, 0x43b7be34
	v_mul_f64 v[15:16], v[17:18], v[15:16]
	v_fma_f64 v[11:12], v[9:10], v[11:12], s[20:21]
	v_div_scale_f64 v[17:18], s[20:21], v[11:12], v[11:12], v[15:16]
	v_div_scale_f64 v[23:24], vcc, v[15:16], v[11:12], v[15:16]
	v_rcp_f64_e32 v[19:20], v[17:18]
	v_fma_f64 v[21:22], -v[17:18], v[19:20], 1.0
	v_fma_f64 v[19:20], v[19:20], v[21:22], v[19:20]
	v_fma_f64 v[21:22], -v[17:18], v[19:20], 1.0
	v_fma_f64 v[19:20], v[19:20], v[21:22], v[19:20]
	v_mul_f64 v[21:22], v[23:24], v[19:20]
	v_fma_f64 v[17:18], -v[17:18], v[21:22], v[23:24]
	v_div_fmas_f64 v[17:18], v[17:18], v[19:20], v[21:22]
	v_div_fixup_f64 v[11:12], v[17:18], v[11:12], v[15:16]
.LBB5_48:
	s_andn2_saveexec_b64 s[18:19], s[18:19]
	s_cbranch_execz .LBB5_50
; %bb.49:
	s_mov_b32 s20, 0
	s_mov_b32 s21, 0xbfd00000
	v_fma_f64 v[11:12], v[9:10], s[20:21], 1.0
.LBB5_50:
	s_or_b64 exec, exec, s[18:19]
	v_frexp_mant_f64_e32 v[15:16], v[1:2]
	s_mov_b32 s19, 0x3fe55555
	s_mov_b32 s18, 0x55555555
	;; [unrolled: 1-line block ×7, first 2 shown]
	v_cmp_gt_f64_e32 vcc, s[18:19], v[15:16]
	s_mov_b32 s31, 0x3fcc71c0
	s_mov_b32 s22, 0x32e48896
	;; [unrolled: 1-line block ×7, first 2 shown]
	v_cndmask_b32_e64 v17, 0, 1, vcc
	v_ldexp_f64 v[15:16], v[15:16], v17
	s_mov_b32 s29, 0x42d3ea72
	s_mov_b32 s34, 0x660b4003
	;; [unrolled: 1-line block ×3, first 2 shown]
	v_add_f64 v[17:18], v[15:16], 1.0
	v_add_f64 v[23:24], v[15:16], -1.0
	v_rcp_f64_e32 v[19:20], v[17:18]
	v_add_f64 v[26:27], v[17:18], -1.0
	v_add_f64 v[15:16], v[15:16], -v[26:27]
	v_fma_f64 v[21:22], -v[17:18], v[19:20], 1.0
	v_fma_f64 v[19:20], v[21:22], v[19:20], v[19:20]
	v_fma_f64 v[21:22], -v[17:18], v[19:20], 1.0
	v_fma_f64 v[19:20], v[21:22], v[19:20], v[19:20]
	v_mul_f64 v[21:22], v[23:24], v[19:20]
	v_mul_f64 v[28:29], v[17:18], v[21:22]
	v_fma_f64 v[17:18], v[21:22], v[17:18], -v[28:29]
	v_fma_f64 v[15:16], v[21:22], v[15:16], v[17:18]
	v_add_f64 v[17:18], v[28:29], v[15:16]
	v_add_f64 v[26:27], v[23:24], -v[17:18]
	v_add_f64 v[28:29], v[17:18], -v[28:29]
	;; [unrolled: 1-line block ×5, first 2 shown]
	v_mov_b32_e32 v23, 0x6b47b09a
	v_mov_b32_e32 v24, 0x3fc38538
	v_add_f64 v[15:16], v[15:16], v[17:18]
	v_add_f64 v[15:16], v[26:27], v[15:16]
	v_mul_f64 v[15:16], v[19:20], v[15:16]
	v_add_f64 v[17:18], v[21:22], v[15:16]
	v_mul_f64 v[19:20], v[17:18], v[17:18]
	v_fma_f64 v[23:24], v[19:20], s[20:21], v[23:24]
	s_mov_b32 s20, 0xe896898f
	s_mov_b32 s21, 0x40ce7437
	v_add_f64 v[26:27], v[13:14], s[20:21]
	s_mov_b32 s20, 0x9b27acf1
	s_mov_b32 s21, 0x3fd24924
	v_mul_f64 v[28:29], v[17:18], v[19:20]
	v_fma_f64 v[23:24], v[19:20], v[23:24], s[24:25]
	s_mov_b32 s24, 0xf0284cdd
	s_mov_b32 s25, 0x41f43f78
	v_fma_f64 v[26:27], v[9:10], v[26:27], s[22:23]
	s_mov_b32 s22, 0x5164d101
	s_mov_b32 s23, 0x41b00763
	;; [unrolled: 3-line block ×3, first 2 shown]
	v_fma_f64 v[26:27], v[9:10], v[26:27], s[24:25]
	v_fma_f64 v[23:24], v[19:20], v[23:24], s[20:21]
	s_mov_b32 s20, 0x576dfcb6
	s_mov_b32 s21, 0x40904522
	v_add_f64 v[13:14], v[13:14], s[20:21]
	s_mov_b32 s20, 0x998ef7b6
	s_mov_b32 s21, 0x3fd99999
	v_fma_f64 v[23:24], v[19:20], v[23:24], s[20:21]
	s_mov_b32 s20, 0xa907bc0c
	s_mov_b32 s21, 0x41231b76
	v_fma_f64 v[13:14], v[9:10], v[13:14], s[20:21]
	;; [unrolled: 3-line block ×3, first 2 shown]
	v_fma_f64 v[23:24], v[9:10], v[26:27], s[26:27]
	v_ldexp_f64 v[26:27], v[17:18], 1
	v_fma_f64 v[13:14], v[9:10], v[13:14], s[22:23]
	s_mov_b32 s18, 0x2b8664bc
	s_mov_b32 s19, 0x42341ddb
	v_add_f64 v[17:18], v[17:18], -v[21:22]
	s_mov_b32 s22, 0xdfeb596d
	v_mul_f64 v[19:20], v[28:29], v[19:20]
	v_frexp_exp_i32_f64_e32 v28, v[1:2]
	s_mov_b32 s23, 0x43268910
	v_fma_f64 v[1:2], v[9:10], v[13:14], s[18:19]
	v_fma_f64 v[13:14], v[9:10], v[23:24], s[28:29]
	s_mov_b32 s18, 0xfefa39ef
	s_mov_b32 s19, 0x3fe62e42
	v_add_f64 v[15:16], v[15:16], -v[17:18]
	v_add_f64 v[21:22], v[26:27], v[19:20]
	v_subbrev_co_u32_e32 v23, vcc, 0, v28, vcc
	v_cvt_f64_i32_e32 v[23:24], v23
	v_fma_f64 v[1:2], v[9:10], v[1:2], s[20:21]
	v_fma_f64 v[13:14], v[9:10], v[13:14], s[30:31]
	s_mov_b32 s20, 0xbcf9b5d0
	v_mul_f64 v[28:29], v[23:24], s[18:19]
	v_add_f64 v[17:18], v[21:22], -v[26:27]
	v_ldexp_f64 v[15:16], v[15:16], 1
	s_mov_b32 s21, 0x438bd25f
	v_fma_f64 v[1:2], v[9:10], v[1:2], s[22:23]
	v_fma_f64 v[13:14], v[9:10], v[13:14], s[34:35]
	v_fma_f64 v[26:27], v[23:24], s[18:19], -v[28:29]
	v_add_f64 v[17:18], v[19:20], -v[17:18]
	s_mov_b32 s18, 0x5906367b
	s_mov_b32 s19, 0xc3506d4b
	v_fma_f64 v[1:2], v[9:10], v[1:2], s[20:21]
	v_fma_f64 v[9:10], v[9:10], v[13:14], s[18:19]
	s_mov_b32 s18, 0x3b39803f
	s_mov_b32 s19, 0x3c7abc9e
	v_fma_f64 v[13:14], v[23:24], s[18:19], v[26:27]
	v_add_f64 v[15:16], v[15:16], v[17:18]
	v_div_scale_f64 v[17:18], s[18:19], v[1:2], v[1:2], v[9:10]
	s_mov_b32 s18, 0x6dc9c883
	v_add_f64 v[19:20], v[28:29], v[13:14]
	v_add_f64 v[23:24], v[21:22], v[15:16]
	s_mov_b32 s19, 0x3fe45f30
	v_add_f64 v[28:29], v[19:20], -v[28:29]
	v_add_f64 v[26:27], v[19:20], v[23:24]
	v_add_f64 v[21:22], v[23:24], -v[21:22]
	v_rcp_f64_e32 v[30:31], v[17:18]
	v_add_f64 v[13:14], v[13:14], -v[28:29]
	v_add_f64 v[32:33], v[26:27], -v[19:20]
	;; [unrolled: 1-line block ×5, first 2 shown]
	v_add_f64 v[28:29], v[13:14], v[15:16]
	v_fma_f64 v[36:37], -v[17:18], v[30:31], 1.0
	v_add_f64 v[19:20], v[19:20], -v[34:35]
	v_add_f64 v[32:33], v[28:29], -v[13:14]
	v_fma_f64 v[23:24], v[30:31], v[36:37], v[30:31]
	v_div_scale_f64 v[30:31], vcc, v[9:10], v[1:2], v[9:10]
	v_add_f64 v[19:20], v[21:22], v[19:20]
	v_add_f64 v[15:16], v[15:16], -v[32:33]
	v_fma_f64 v[21:22], -v[17:18], v[23:24], 1.0
	v_add_f64 v[19:20], v[28:29], v[19:20]
	v_fma_f64 v[21:22], v[23:24], v[21:22], v[23:24]
	v_add_f64 v[23:24], v[28:29], -v[32:33]
	v_add_f64 v[28:29], v[26:27], v[19:20]
	v_mul_f64 v[34:35], v[30:31], v[21:22]
	v_add_f64 v[13:14], v[13:14], -v[23:24]
	v_add_f64 v[23:24], v[28:29], -v[26:27]
	v_fma_f64 v[17:18], -v[17:18], v[34:35], v[30:31]
	v_add_f64 v[13:14], v[15:16], v[13:14]
	v_add_f64 v[15:16], v[19:20], -v[23:24]
	v_div_fmas_f64 v[17:18], v[17:18], v[21:22], v[34:35]
	v_add_f64 v[13:14], v[13:14], v[15:16]
	v_add_f64 v[13:14], v[28:29], v[13:14]
	v_div_fixup_f64 v[1:2], v[17:18], v[1:2], v[9:10]
	v_mul_f64 v[9:10], v[13:14], s[18:19]
	v_fma_f64 v[9:10], v[9:10], v[11:12], v[1:2]
.LBB5_51:
	s_or_b64 exec, exec, s[16:17]
.LBB5_52:
	s_or_b64 exec, exec, s[14:15]
.LBB5_53:
	s_andn2_saveexec_b64 s[14:15], s[4:5]
	s_cbranch_execz .LBB5_63
; %bb.54:
	s_mov_b32 s19, 0xbfe921fb
	s_mov_b32 s18, 0x54442d18
	v_add_f64 v[9:10], v[1:2], s[18:19]
	s_mov_b32 s4, 0
	s_mov_b32 s5, 0x41d00000
                                        ; implicit-def: $vgpr27
                                        ; implicit-def: $vgpr15_vgpr16
                                        ; implicit-def: $vgpr17_vgpr18
	v_trig_preop_f64 v[23:24], |v[9:10]|, 0
	v_trig_preop_f64 v[21:22], |v[9:10]|, 1
	;; [unrolled: 1-line block ×3, first 2 shown]
	v_cmp_nlt_f64_e64 s[16:17], |v[9:10]|, s[4:5]
	s_and_saveexec_b64 s[4:5], s[16:17]
	s_xor_b64 s[20:21], exec, s[4:5]
	s_cbranch_execz .LBB5_56
; %bb.55:
	s_mov_b32 s4, 0
	s_mov_b32 s5, 0x7b000000
	s_movk_i32 s19, 0xff80
	v_ldexp_f64 v[11:12], |v[9:10]|, s19
	v_cmp_ge_f64_e64 vcc, |v[9:10]|, s[4:5]
	v_and_b32_e32 v13, 0x7fffffff, v10
	s_mov_b32 s4, 0
	s_mov_b32 s5, 0x7ff00000
	v_mov_b32_e32 v39, 0x40100000
	v_mov_b32_e32 v38, 0
	s_mov_b32 s19, 0x3ff921fb
	v_cndmask_b32_e32 v12, v13, v12, vcc
	v_cndmask_b32_e32 v11, v9, v11, vcc
	v_mul_f64 v[13:14], v[23:24], v[11:12]
	v_mul_f64 v[15:16], v[21:22], v[11:12]
	v_mul_f64 v[32:33], v[19:20], v[11:12]
	v_fma_f64 v[17:18], v[23:24], v[11:12], -v[13:14]
	v_fma_f64 v[34:35], v[21:22], v[11:12], -v[15:16]
	;; [unrolled: 1-line block ×3, first 2 shown]
	v_add_f64 v[26:27], v[15:16], v[17:18]
	v_add_f64 v[28:29], v[26:27], -v[15:16]
	v_add_f64 v[36:37], v[13:14], v[26:27]
	v_add_f64 v[30:31], v[26:27], -v[28:29]
	v_add_f64 v[17:18], v[17:18], -v[28:29]
	v_add_f64 v[28:29], v[32:33], v[34:35]
	v_add_f64 v[13:14], v[36:37], -v[13:14]
	v_add_f64 v[15:16], v[15:16], -v[30:31]
	v_ldexp_f64 v[30:31], v[36:37], -2
	v_add_f64 v[40:41], v[28:29], -v[32:33]
	v_add_f64 v[13:14], v[26:27], -v[13:14]
	v_add_f64 v[15:16], v[17:18], v[15:16]
	v_fract_f64_e32 v[17:18], v[30:31]
	v_cmp_neq_f64_e64 vcc, |v[30:31]|, s[4:5]
	v_add_f64 v[34:35], v[34:35], -v[40:41]
	v_add_f64 v[26:27], v[28:29], v[15:16]
	v_ldexp_f64 v[17:18], v[17:18], 2
	v_add_f64 v[30:31], v[13:14], v[26:27]
	v_cndmask_b32_e32 v18, 0, v18, vcc
	v_cndmask_b32_e32 v17, 0, v17, vcc
	v_add_f64 v[42:43], v[26:27], -v[28:29]
	v_add_f64 v[36:37], v[30:31], v[17:18]
	v_add_f64 v[13:14], v[30:31], -v[13:14]
	v_add_f64 v[44:45], v[26:27], -v[42:43]
	;; [unrolled: 1-line block ×3, first 2 shown]
	v_cmp_gt_f64_e32 vcc, 0, v[36:37]
	v_add_f64 v[36:37], v[28:29], -v[40:41]
	v_add_f64 v[13:14], v[26:27], -v[13:14]
	;; [unrolled: 1-line block ×3, first 2 shown]
	v_cndmask_b32_e32 v39, 0, v39, vcc
	v_add_f64 v[17:18], v[17:18], v[38:39]
	v_add_f64 v[36:37], v[32:33], -v[36:37]
	v_add_f64 v[15:16], v[15:16], v[28:29]
	v_add_f64 v[46:47], v[30:31], v[17:18]
	;; [unrolled: 1-line block ×3, first 2 shown]
	v_cvt_i32_f64_e32 v41, v[46:47]
	v_add_f64 v[15:16], v[34:35], v[15:16]
	v_cvt_f64_i32_e32 v[39:40], v41
	v_add_f64 v[17:18], v[17:18], -v[39:40]
	v_add_f64 v[11:12], v[11:12], v[15:16]
	v_add_f64 v[28:29], v[30:31], v[17:18]
	;; [unrolled: 1-line block ×3, first 2 shown]
	v_add_f64 v[15:16], v[28:29], -v[17:18]
	v_cmp_le_f64_e32 vcc, 0.5, v[28:29]
	v_add_f64 v[13:14], v[30:31], -v[15:16]
	v_mov_b32_e32 v15, 0x3ff00000
	v_cndmask_b32_e32 v39, 0, v15, vcc
	v_addc_co_u32_e64 v27, s[4:5], 0, v41, vcc
	s_mov_b32 s4, 0x33145c07
	s_mov_b32 s5, 0x3c91a626
	v_add_f64 v[11:12], v[11:12], v[13:14]
	v_add_f64 v[13:14], v[28:29], -v[38:39]
	v_add_f64 v[15:16], v[13:14], v[11:12]
	v_mul_f64 v[17:18], v[15:16], s[18:19]
	v_add_f64 v[13:14], v[15:16], -v[13:14]
	v_fma_f64 v[28:29], v[15:16], s[18:19], -v[17:18]
	v_add_f64 v[11:12], v[11:12], -v[13:14]
	v_fma_f64 v[13:14], v[15:16], s[4:5], v[28:29]
	v_fma_f64 v[11:12], v[11:12], s[18:19], v[13:14]
	v_add_f64 v[15:16], v[17:18], v[11:12]
	v_add_f64 v[13:14], v[15:16], -v[17:18]
	v_add_f64 v[17:18], v[11:12], -v[13:14]
	s_andn2_saveexec_b64 s[4:5], s[20:21]
	s_cbranch_execz .LBB5_58
	s_branch .LBB5_57
.LBB5_56:
	s_andn2_saveexec_b64 s[4:5], s[20:21]
	s_cbranch_execz .LBB5_58
.LBB5_57:
	s_mov_b32 s18, 0x6dc9c883
	s_mov_b32 s19, 0x3fe45f30
	v_mul_f64 v[11:12], |v[9:10]|, s[18:19]
	s_mov_b32 s18, 0x54442d18
	s_mov_b32 s19, 0xbff921fb
	;; [unrolled: 1-line block ×4, first 2 shown]
	v_rndne_f64_e32 v[11:12], v[11:12]
	v_fma_f64 v[13:14], v[11:12], s[18:19], |v[9:10]|
	v_mul_f64 v[15:16], v[11:12], s[20:21]
	s_mov_b32 s18, 0x252049c0
	s_mov_b32 s19, 0xb97b839a
	v_add_f64 v[17:18], v[13:14], v[15:16]
	v_add_f64 v[26:27], v[13:14], -v[17:18]
	v_fma_f64 v[13:14], v[11:12], s[20:21], v[13:14]
	s_mov_b32 s21, 0x3c91a626
	v_add_f64 v[26:27], v[26:27], v[15:16]
	v_add_f64 v[17:18], v[17:18], -v[13:14]
	v_fma_f64 v[15:16], v[11:12], s[20:21], v[15:16]
	v_add_f64 v[17:18], v[17:18], v[26:27]
	v_cvt_i32_f64_e32 v27, v[11:12]
	v_add_f64 v[15:16], v[17:18], -v[15:16]
	v_fma_f64 v[17:18], v[11:12], s[18:19], v[15:16]
	v_add_f64 v[15:16], v[13:14], v[17:18]
	v_add_f64 v[13:14], v[15:16], -v[13:14]
	v_add_f64 v[17:18], v[17:18], -v[13:14]
.LBB5_58:
	s_or_b64 exec, exec, s[4:5]
                                        ; implicit-def: $vgpr26
                                        ; implicit-def: $vgpr11_vgpr12
                                        ; implicit-def: $vgpr13_vgpr14
	s_and_saveexec_b64 s[4:5], s[16:17]
	s_xor_b64 s[16:17], exec, s[4:5]
	s_cbranch_execz .LBB5_60
; %bb.59:
	s_mov_b32 s4, 0
	s_mov_b32 s5, 0x7b000000
	s_movk_i32 s18, 0xff80
	v_ldexp_f64 v[11:12], |v[9:10]|, s18
	v_cmp_ge_f64_e64 vcc, |v[9:10]|, s[4:5]
	v_and_b32_e32 v13, 0x7fffffff, v10
	s_mov_b32 s4, 0
	s_mov_b32 s5, 0x7ff00000
	v_mov_b32_e32 v26, 0x40100000
	v_mov_b32_e32 v40, 0
	s_mov_b32 s18, 0x33145c07
	s_mov_b32 s19, 0x3c91a626
	v_cndmask_b32_e32 v12, v13, v12, vcc
	v_cndmask_b32_e32 v11, v9, v11, vcc
	v_mul_f64 v[13:14], v[23:24], v[11:12]
	v_mul_f64 v[28:29], v[21:22], v[11:12]
	;; [unrolled: 1-line block ×3, first 2 shown]
	v_fma_f64 v[23:24], v[23:24], v[11:12], -v[13:14]
	v_fma_f64 v[21:22], v[21:22], v[11:12], -v[28:29]
	;; [unrolled: 1-line block ×3, first 2 shown]
	v_add_f64 v[30:31], v[28:29], v[23:24]
	v_add_f64 v[32:33], v[30:31], -v[28:29]
	v_add_f64 v[38:39], v[13:14], v[30:31]
	v_add_f64 v[34:35], v[30:31], -v[32:33]
	v_add_f64 v[23:24], v[23:24], -v[32:33]
	v_add_f64 v[32:33], v[36:37], v[21:22]
	v_add_f64 v[13:14], v[38:39], -v[13:14]
	v_add_f64 v[28:29], v[28:29], -v[34:35]
	v_ldexp_f64 v[34:35], v[38:39], -2
	v_add_f64 v[42:43], v[32:33], -v[36:37]
	v_add_f64 v[13:14], v[30:31], -v[13:14]
	v_add_f64 v[23:24], v[23:24], v[28:29]
	v_fract_f64_e32 v[28:29], v[34:35]
	v_cmp_neq_f64_e64 vcc, |v[34:35]|, s[4:5]
	v_add_f64 v[21:22], v[21:22], -v[42:43]
	v_add_f64 v[30:31], v[32:33], v[23:24]
	v_ldexp_f64 v[28:29], v[28:29], 2
	v_add_f64 v[34:35], v[13:14], v[30:31]
	v_cndmask_b32_e32 v29, 0, v29, vcc
	v_cndmask_b32_e32 v28, 0, v28, vcc
	v_add_f64 v[44:45], v[30:31], -v[32:33]
	v_add_f64 v[38:39], v[34:35], v[28:29]
	v_add_f64 v[13:14], v[34:35], -v[13:14]
	v_add_f64 v[46:47], v[30:31], -v[44:45]
	;; [unrolled: 1-line block ×3, first 2 shown]
	v_cmp_gt_f64_e32 vcc, 0, v[38:39]
	v_add_f64 v[38:39], v[32:33], -v[42:43]
	v_add_f64 v[13:14], v[30:31], -v[13:14]
	;; [unrolled: 1-line block ×3, first 2 shown]
	v_cndmask_b32_e32 v41, 0, v26, vcc
	v_add_f64 v[28:29], v[28:29], v[40:41]
	v_add_f64 v[38:39], v[36:37], -v[38:39]
	v_add_f64 v[23:24], v[23:24], v[32:33]
	v_add_f64 v[48:49], v[34:35], v[28:29]
	;; [unrolled: 1-line block ×3, first 2 shown]
	v_cvt_i32_f64_e32 v26, v[48:49]
	v_add_f64 v[19:20], v[21:22], v[23:24]
	v_cvt_f64_i32_e32 v[41:42], v26
	v_add_f64 v[28:29], v[28:29], -v[41:42]
	v_add_f64 v[11:12], v[11:12], v[19:20]
	v_add_f64 v[21:22], v[34:35], v[28:29]
	;; [unrolled: 1-line block ×3, first 2 shown]
	v_add_f64 v[19:20], v[21:22], -v[28:29]
	v_cmp_le_f64_e32 vcc, 0.5, v[21:22]
	v_add_f64 v[13:14], v[34:35], -v[19:20]
	v_mov_b32_e32 v19, 0x3ff00000
	v_cndmask_b32_e32 v41, 0, v19, vcc
	v_addc_co_u32_e64 v26, s[4:5], 0, v26, vcc
	s_mov_b32 s4, 0x54442d18
	s_mov_b32 s5, 0x3ff921fb
	v_add_f64 v[11:12], v[11:12], v[13:14]
	v_add_f64 v[13:14], v[21:22], -v[40:41]
	v_add_f64 v[19:20], v[13:14], v[11:12]
	v_mul_f64 v[21:22], v[19:20], s[4:5]
	v_add_f64 v[13:14], v[19:20], -v[13:14]
	v_fma_f64 v[23:24], v[19:20], s[4:5], -v[21:22]
	v_add_f64 v[11:12], v[11:12], -v[13:14]
	v_fma_f64 v[13:14], v[19:20], s[18:19], v[23:24]
	v_fma_f64 v[13:14], v[11:12], s[4:5], v[13:14]
	v_add_f64 v[11:12], v[21:22], v[13:14]
	v_add_f64 v[19:20], v[11:12], -v[21:22]
	v_add_f64 v[13:14], v[13:14], -v[19:20]
	s_andn2_saveexec_b64 s[4:5], s[16:17]
	s_cbranch_execnz .LBB5_61
	s_branch .LBB5_62
.LBB5_60:
	s_andn2_saveexec_b64 s[4:5], s[16:17]
	s_cbranch_execz .LBB5_62
.LBB5_61:
	s_mov_b32 s16, 0x6dc9c883
	s_mov_b32 s17, 0x3fe45f30
	v_mul_f64 v[11:12], |v[9:10]|, s[16:17]
	s_mov_b32 s16, 0x54442d18
	s_mov_b32 s17, 0xbff921fb
	;; [unrolled: 1-line block ×4, first 2 shown]
	v_rndne_f64_e32 v[19:20], v[11:12]
	v_fma_f64 v[11:12], v[19:20], s[16:17], |v[9:10]|
	v_mul_f64 v[13:14], v[19:20], s[18:19]
	s_mov_b32 s16, 0x252049c0
	s_mov_b32 s17, 0xb97b839a
	v_cvt_i32_f64_e32 v26, v[19:20]
	v_fma_f64 v[28:29], v[19:20], s[18:19], v[11:12]
	v_add_f64 v[21:22], v[11:12], v[13:14]
	s_mov_b32 s19, 0x3c91a626
	v_add_f64 v[23:24], v[11:12], -v[21:22]
	v_add_f64 v[21:22], v[21:22], -v[28:29]
	v_add_f64 v[11:12], v[23:24], v[13:14]
	v_fma_f64 v[13:14], v[19:20], s[18:19], v[13:14]
	v_add_f64 v[11:12], v[21:22], v[11:12]
	v_add_f64 v[11:12], v[11:12], -v[13:14]
	v_fma_f64 v[13:14], v[19:20], s[16:17], v[11:12]
	v_add_f64 v[11:12], v[28:29], v[13:14]
	v_add_f64 v[21:22], v[11:12], -v[28:29]
	v_add_f64 v[13:14], v[13:14], -v[21:22]
.LBB5_62:
	s_or_b64 exec, exec, s[4:5]
	v_mul_f64 v[19:20], v[1:2], v[1:2]
	s_mov_b32 s4, 0
	s_mov_b32 s5, 0x40390000
	;; [unrolled: 1-line block ×7, first 2 shown]
	v_div_scale_f64 v[21:22], s[16:17], v[19:20], v[19:20], s[4:5]
	s_mov_b32 s16, 0x46cc5e42
	s_mov_b32 s17, 0xbda907db
	;; [unrolled: 1-line block ×13, first 2 shown]
	v_mul_f64 v[40:41], v[17:18], 0.5
	v_rcp_f64_e32 v[23:24], v[21:22]
	s_mov_b32 s37, 0xbfc55555
	s_mov_b32 s36, s24
	;; [unrolled: 1-line block ×4, first 2 shown]
	v_fma_f64 v[28:29], -v[21:22], v[23:24], 1.0
	v_fma_f64 v[23:24], v[23:24], v[28:29], v[23:24]
	v_fma_f64 v[28:29], -v[21:22], v[23:24], 1.0
	v_fma_f64 v[23:24], v[23:24], v[28:29], v[23:24]
	v_div_scale_f64 v[28:29], vcc, s[4:5], v[19:20], s[4:5]
	v_mul_f64 v[30:31], v[28:29], v[23:24]
	v_fma_f64 v[21:22], -v[21:22], v[30:31], v[28:29]
	s_nop 1
	v_div_fmas_f64 v[21:22], v[21:22], v[23:24], v[30:31]
	v_mov_b32_e32 v30, 0x413c25ac
	v_mov_b32_e32 v31, 0x40501457
	v_div_fixup_f64 v[21:22], v[21:22], v[19:20], s[4:5]
	v_mov_b32_e32 v19, 0x983b6b27
	v_mov_b32_e32 v20, 0x3f4a1d30
	s_mov_b32 s4, 0xb35dd1cf
	s_mov_b32 s5, 0x3fb534b0
	v_fma_f64 v[19:20], v[21:22], 0, v[19:20]
	v_fma_f64 v[30:31], v[21:22], 0, v[30:31]
	;; [unrolled: 1-line block ×3, first 2 shown]
	s_mov_b32 s4, 0x4e680b98
	s_mov_b32 s5, 0x3ff3d521
	v_fma_f64 v[19:20], v[21:22], v[19:20], s[4:5]
	s_mov_b32 s4, 0xe97a0956
	s_mov_b32 s5, 0x4015c9fb
	v_fma_f64 v[19:20], v[21:22], v[19:20], s[4:5]
	;; [unrolled: 3-line block ×4, first 2 shown]
	v_mov_b32_e32 v19, 0xce039737
	v_mov_b32_e32 v20, 0x3f4e4a80
	v_fma_f64 v[19:20], v[21:22], 0, v[19:20]
	s_mov_b32 s4, 0xab5454e3
	s_mov_b32 s5, 0x3fb5ebc5
	v_fma_f64 v[19:20], v[21:22], v[19:20], s[4:5]
	s_mov_b32 s4, 0xc9b3069f
	s_mov_b32 s5, 0x3ff40e72
	;; [unrolled: 3-line block ×6, first 2 shown]
	v_fma_f64 v[28:29], v[21:22], v[19:20], 1.0
	v_mov_b32_e32 v19, 0x38a5384a
	v_mov_b32_e32 v20, 0xbf874742
	v_fma_f64 v[19:20], v[21:22], 0, v[19:20]
	v_fma_f64 v[19:20], v[21:22], v[19:20], s[4:5]
	s_mov_b32 s4, 0xf50e2c0c
	s_mov_b32 s5, 0xc0338dcf
	v_fma_f64 v[19:20], v[21:22], v[19:20], s[4:5]
	s_mov_b32 s4, 0x5a6de8c4
	s_mov_b32 s5, 0xc0574d2f
	;; [unrolled: 3-line block ×12, first 2 shown]
	v_fma_f64 v[30:31], v[21:22], v[30:31], s[4:5]
	v_fma_f64 v[21:22], v[21:22], v[23:24], 1.0
	v_div_scale_f64 v[23:24], s[4:5], v[28:29], v[28:29], v[21:22]
	s_mov_b32 s4, 0x9037ab78
	s_mov_b32 s5, 0x3e21eeb6
	v_rcp_f64_e32 v[32:33], v[23:24]
	v_fma_f64 v[34:35], -v[23:24], v[32:33], 1.0
	v_fma_f64 v[32:33], v[32:33], v[34:35], v[32:33]
	v_fma_f64 v[34:35], -v[23:24], v[32:33], 1.0
	v_fma_f64 v[32:33], v[32:33], v[34:35], v[32:33]
	v_div_scale_f64 v[34:35], vcc, v[21:22], v[28:29], v[21:22]
	v_mul_f64 v[36:37], v[34:35], v[32:33]
	v_fma_f64 v[23:24], -v[23:24], v[36:37], v[34:35]
	s_nop 1
	v_div_fmas_f64 v[23:24], v[23:24], v[32:33], v[36:37]
	v_mov_b32_e32 v37, s5
	v_mov_b32_e32 v36, s4
	s_mov_b32 s4, 0xb42fdfa7
	s_mov_b32 s5, 0xbe5ae600
	v_div_fixup_f64 v[21:22], v[23:24], v[28:29], v[21:22]
	v_mul_f64 v[23:24], v[15:16], v[15:16]
	v_mul_f64 v[28:29], v[23:24], 0.5
	v_fma_f64 v[38:39], v[23:24], s[16:17], v[36:37]
	v_add_f64 v[32:33], -v[28:29], 1.0
	v_fma_f64 v[38:39], v[23:24], v[38:39], s[18:19]
	v_add_f64 v[34:35], -v[32:33], 1.0
	v_fma_f64 v[38:39], v[23:24], v[38:39], s[20:21]
	v_add_f64 v[28:29], v[34:35], -v[28:29]
	v_fma_f64 v[38:39], v[23:24], v[38:39], s[22:23]
	v_mul_f64 v[34:35], v[23:24], v[23:24]
	v_fma_f64 v[28:29], v[15:16], -v[17:18], v[28:29]
	v_fma_f64 v[38:39], v[23:24], v[38:39], s[24:25]
	v_fma_f64 v[28:29], v[34:35], v[38:39], v[28:29]
	v_mul_f64 v[38:39], v[15:16], -v[23:24]
	v_add_f64 v[28:29], v[32:33], v[28:29]
	v_mov_b32_e32 v33, s5
	v_mov_b32_e32 v32, s4
	v_fma_f64 v[34:35], v[23:24], s[26:27], v[32:33]
	s_movk_i32 s4, 0x1f8
	v_cmp_class_f64_e64 s[4:5], v[9:10], s4
	v_fma_f64 v[34:35], v[23:24], v[34:35], s[28:29]
	v_fma_f64 v[34:35], v[23:24], v[34:35], s[30:31]
	;; [unrolled: 1-line block ×4, first 2 shown]
	v_fma_f64 v[17:18], v[23:24], v[34:35], -v[17:18]
	v_fma_f64 v[17:18], v[38:39], s[36:37], v[17:18]
	v_mov_b32_e32 v38, 0x7ff80000
	v_add_f64 v[15:16], v[15:16], -v[17:18]
	v_and_b32_e32 v17, 1, v27
	v_cmp_eq_u32_e32 vcc, 0, v17
	v_lshlrev_b32_e32 v17, 30, v27
	v_xor_b32_e32 v17, v17, v10
	v_and_b32_e32 v17, 0x80000000, v17
	v_cndmask_b32_e32 v16, v29, v16, vcc
	v_cndmask_b32_e32 v15, v28, v15, vcc
	v_xor_b32_e32 v16, v16, v17
	v_cndmask_b32_e64 v9, 0, v15, s[4:5]
	v_cndmask_b32_e64 v10, v38, v16, s[4:5]
	v_div_scale_f64 v[15:16], s[40:41], v[1:2], v[1:2], s[38:39]
	v_rcp_f64_e32 v[17:18], v[15:16]
	v_fma_f64 v[23:24], -v[15:16], v[17:18], 1.0
	v_fma_f64 v[17:18], v[17:18], v[23:24], v[17:18]
	v_fma_f64 v[23:24], -v[15:16], v[17:18], 1.0
	v_fma_f64 v[17:18], v[17:18], v[23:24], v[17:18]
	v_div_scale_f64 v[23:24], vcc, s[38:39], v[1:2], s[38:39]
	v_mul_f64 v[27:28], v[23:24], v[17:18]
	v_fma_f64 v[15:16], -v[15:16], v[27:28], v[23:24]
	s_nop 1
	v_div_fmas_f64 v[15:16], v[15:16], v[17:18], v[27:28]
	v_div_fixup_f64 v[15:16], v[15:16], v[1:2], s[38:39]
	v_div_scale_f64 v[17:18], s[38:39], v[30:31], v[30:31], v[19:20]
	v_rcp_f64_e32 v[23:24], v[17:18]
	v_fma_f64 v[27:28], -v[17:18], v[23:24], 1.0
	v_fma_f64 v[23:24], v[23:24], v[27:28], v[23:24]
	v_fma_f64 v[27:28], -v[17:18], v[23:24], 1.0
	v_fma_f64 v[23:24], v[23:24], v[27:28], v[23:24]
	v_div_scale_f64 v[27:28], vcc, v[19:20], v[30:31], v[19:20]
	v_mul_f64 v[34:35], v[27:28], v[23:24]
	v_fma_f64 v[17:18], -v[17:18], v[34:35], v[27:28]
	s_nop 1
	v_div_fmas_f64 v[17:18], v[17:18], v[23:24], v[34:35]
	v_div_fixup_f64 v[17:18], v[17:18], v[30:31], v[19:20]
	v_mul_f64 v[15:16], v[15:16], v[17:18]
	v_mul_f64 v[17:18], v[11:12], v[11:12]
	v_mul_f64 v[19:20], v[17:18], 0.5
	v_fma_f64 v[29:30], v[17:18], s[16:17], v[36:37]
	v_add_f64 v[23:24], -v[19:20], 1.0
	v_fma_f64 v[29:30], v[17:18], v[29:30], s[18:19]
	v_add_f64 v[27:28], -v[23:24], 1.0
	v_fma_f64 v[29:30], v[17:18], v[29:30], s[20:21]
	v_add_f64 v[19:20], v[27:28], -v[19:20]
	v_fma_f64 v[29:30], v[17:18], v[29:30], s[22:23]
	v_mul_f64 v[27:28], v[17:18], v[17:18]
	v_fma_f64 v[19:20], v[11:12], -v[13:14], v[19:20]
	v_fma_f64 v[29:30], v[17:18], v[29:30], s[24:25]
	v_fma_f64 v[19:20], v[27:28], v[29:30], v[19:20]
	v_mul_f64 v[27:28], v[11:12], -v[17:18]
	v_mul_f64 v[29:30], v[13:14], 0.5
	v_add_f64 v[19:20], v[23:24], v[19:20]
	v_fma_f64 v[23:24], v[17:18], s[26:27], v[32:33]
	v_fma_f64 v[23:24], v[17:18], v[23:24], s[28:29]
	;; [unrolled: 1-line block ×5, first 2 shown]
	v_fma_f64 v[13:14], v[17:18], v[23:24], -v[13:14]
	v_fma_f64 v[13:14], v[27:28], s[36:37], v[13:14]
	v_add_f64 v[11:12], v[11:12], -v[13:14]
	v_and_b32_e32 v13, 1, v26
	v_cmp_eq_u32_e32 vcc, 0, v13
	v_lshlrev_b32_e32 v13, 30, v26
	v_and_b32_e32 v13, 0x80000000, v13
	v_xor_b32_e32 v12, 0x80000000, v12
	v_cndmask_b32_e32 v12, v12, v20, vcc
	v_cndmask_b32_e32 v11, v11, v19, vcc
	v_xor_b32_e32 v12, v12, v13
	v_cndmask_b32_e64 v11, 0, v11, s[4:5]
	v_cndmask_b32_e64 v12, v38, v12, s[4:5]
	v_mul_f64 v[11:12], v[15:16], v[11:12]
	s_mov_b32 s4, 0x33d43651
	s_mov_b32 s5, 0x3fe98845
	v_fma_f64 v[9:10], v[21:22], v[9:10], v[11:12]
	v_mov_b32_e32 v11, 0x100
	v_mul_f64 v[9:10], v[9:10], s[4:5]
	s_mov_b32 s4, 0
	s_brev_b32 s5, 8
	v_cmp_gt_f64_e32 vcc, s[4:5], v[1:2]
	v_cndmask_b32_e32 v11, 0, v11, vcc
	v_ldexp_f64 v[1:2], v[1:2], v11
	v_rsq_f64_e32 v[11:12], v[1:2]
	v_mul_f64 v[13:14], v[1:2], v[11:12]
	v_mul_f64 v[11:12], v[11:12], 0.5
	v_fma_f64 v[15:16], -v[11:12], v[13:14], 0.5
	v_fma_f64 v[13:14], v[13:14], v[15:16], v[13:14]
	v_fma_f64 v[11:12], v[11:12], v[15:16], v[11:12]
	v_fma_f64 v[17:18], -v[13:14], v[13:14], v[1:2]
	v_fma_f64 v[13:14], v[17:18], v[11:12], v[13:14]
	v_fma_f64 v[15:16], -v[13:14], v[13:14], v[1:2]
	v_fma_f64 v[11:12], v[15:16], v[11:12], v[13:14]
	v_mov_b32_e32 v13, 0xffffff80
	v_cndmask_b32_e32 v13, 0, v13, vcc
	v_ldexp_f64 v[11:12], v[11:12], v13
	v_mov_b32_e32 v13, 0x260
	v_cmp_class_f64_e32 vcc, v[1:2], v13
	v_cndmask_b32_e32 v2, v12, v2, vcc
	v_cndmask_b32_e32 v1, v11, v1, vcc
	v_div_scale_f64 v[11:12], s[4:5], v[1:2], v[1:2], v[9:10]
	v_rcp_f64_e32 v[13:14], v[11:12]
	v_fma_f64 v[15:16], -v[11:12], v[13:14], 1.0
	v_fma_f64 v[13:14], v[13:14], v[15:16], v[13:14]
	v_fma_f64 v[15:16], -v[11:12], v[13:14], 1.0
	v_fma_f64 v[13:14], v[13:14], v[15:16], v[13:14]
	v_div_scale_f64 v[15:16], vcc, v[9:10], v[1:2], v[9:10]
	v_mul_f64 v[17:18], v[15:16], v[13:14]
	v_fma_f64 v[11:12], -v[11:12], v[17:18], v[15:16]
	s_nop 1
	v_div_fmas_f64 v[11:12], v[11:12], v[13:14], v[17:18]
	v_div_fixup_f64 v[9:10], v[11:12], v[1:2], v[9:10]
.LBB5_63:
	s_or_b64 exec, exec, s[14:15]
	s_mov_b32 s4, 0
	s_mov_b32 s5, 0x40140000
	v_cmp_ge_f64_e32 vcc, s[4:5], v[3:4]
	s_and_saveexec_b64 s[4:5], vcc
	s_xor_b64 s[4:5], exec, s[4:5]
	s_cbranch_execz .LBB5_73
; %bb.64:
	v_cmp_neq_f64_e32 vcc, 0, v[3:4]
	v_mov_b32_e32 v11, 0
	v_mov_b32_e32 v12, 0xfff00000
	s_and_saveexec_b64 s[14:15], vcc
	s_cbranch_execz .LBB5_72
; %bb.65:
	v_cmp_ngt_f64_e32 vcc, 0, v[3:4]
	v_mov_b32_e32 v11, 0
	v_mov_b32_e32 v12, 0x7ff80000
	s_and_saveexec_b64 s[16:17], vcc
	s_cbranch_execz .LBB5_71
; %bb.66:
	v_mul_f64 v[1:2], v[3:4], v[3:4]
	s_mov_b32 s18, 0x88e368f1
	s_mov_b32 s19, 0x3ee4f8b5
	v_cmp_ngt_f64_e32 vcc, s[18:19], v[3:4]
                                        ; implicit-def: $vgpr11_vgpr12
	v_mul_f64 v[13:14], v[1:2], 0
	s_and_saveexec_b64 s[18:19], vcc
	s_xor_b64 s[18:19], exec, s[18:19]
	s_cbranch_execz .LBB5_68
; %bb.67:
	s_mov_b32 s20, 0xa696b78c
	s_mov_b32 s21, 0x407f3902
	v_add_f64 v[11:12], v[13:14], s[20:21]
	s_mov_b32 s20, 0x36a21a67
	s_mov_b32 s21, 0x410536cb
	;; [unrolled: 1-line block ×7, first 2 shown]
	v_fma_f64 v[11:12], v[1:2], v[11:12], s[20:21]
	s_mov_b32 s20, 0x2eac0634
	s_mov_b32 s21, 0x41871934
	;; [unrolled: 1-line block ×3, first 2 shown]
	v_fma_f64 v[11:12], v[1:2], v[11:12], s[20:21]
	s_mov_b32 s20, 0xad1c8325
	s_mov_b32 s21, 0xc1f1dc53
	v_add_f64 v[15:16], v[13:14], s[20:21]
	s_mov_b32 s20, 0xe0d900f7
	s_mov_b32 s21, 0xc2ec5614
	v_fma_f64 v[11:12], v[1:2], v[11:12], s[24:25]
	s_mov_b32 s24, 0x72182e46
	s_mov_b32 s25, 0x427ebeb3
	v_fma_f64 v[15:16], v[1:2], v[15:16], s[22:23]
	s_mov_b32 s22, 0x80462bbb
	s_mov_b32 s23, 0xc01721fb
	v_add_f64 v[17:18], v[1:2], s[22:23]
	s_mov_b32 s22, 0x69ff5fb4
	v_fma_f64 v[11:12], v[1:2], v[11:12], s[24:25]
	s_mov_b32 s24, 0xa621dd6f
	s_mov_b32 s25, 0xc03e78a4
	v_add_f64 v[19:20], v[1:2], s[24:25]
	v_fma_f64 v[15:16], v[1:2], v[15:16], s[20:21]
	s_mov_b32 s20, 0x7e7b2e9c
	s_mov_b32 s21, 0x435c4141
	s_mov_b32 s23, 0x43413ef8
	v_fma_f64 v[11:12], v[1:2], v[11:12], s[26:27]
	v_mul_f64 v[17:18], v[17:18], v[19:20]
	v_fma_f64 v[15:16], v[1:2], v[15:16], s[22:23]
	v_fma_f64 v[11:12], v[1:2], v[11:12], s[20:21]
	s_mov_b32 s20, 0xc7b662cc
	s_mov_b32 s21, 0x43b7be34
	v_mul_f64 v[15:16], v[17:18], v[15:16]
	v_fma_f64 v[11:12], v[1:2], v[11:12], s[20:21]
	v_div_scale_f64 v[17:18], s[20:21], v[11:12], v[11:12], v[15:16]
	v_div_scale_f64 v[23:24], vcc, v[15:16], v[11:12], v[15:16]
	v_rcp_f64_e32 v[19:20], v[17:18]
	v_fma_f64 v[21:22], -v[17:18], v[19:20], 1.0
	v_fma_f64 v[19:20], v[19:20], v[21:22], v[19:20]
	v_fma_f64 v[21:22], -v[17:18], v[19:20], 1.0
	v_fma_f64 v[19:20], v[19:20], v[21:22], v[19:20]
	v_mul_f64 v[21:22], v[23:24], v[19:20]
	v_fma_f64 v[17:18], -v[17:18], v[21:22], v[23:24]
	v_div_fmas_f64 v[17:18], v[17:18], v[19:20], v[21:22]
	v_div_fixup_f64 v[11:12], v[17:18], v[11:12], v[15:16]
.LBB5_68:
	s_andn2_saveexec_b64 s[18:19], s[18:19]
	s_cbranch_execz .LBB5_70
; %bb.69:
	s_mov_b32 s20, 0
	s_mov_b32 s21, 0xbfd00000
	v_fma_f64 v[11:12], v[1:2], s[20:21], 1.0
.LBB5_70:
	s_or_b64 exec, exec, s[18:19]
	v_frexp_mant_f64_e32 v[15:16], v[3:4]
	s_mov_b32 s19, 0x3fe55555
	s_mov_b32 s18, 0x55555555
	;; [unrolled: 1-line block ×7, first 2 shown]
	v_cmp_gt_f64_e32 vcc, s[18:19], v[15:16]
	s_mov_b32 s31, 0x3fcc71c0
	s_mov_b32 s22, 0x32e48896
	;; [unrolled: 1-line block ×7, first 2 shown]
	v_cndmask_b32_e64 v17, 0, 1, vcc
	v_ldexp_f64 v[15:16], v[15:16], v17
	s_mov_b32 s29, 0x42d3ea72
	s_mov_b32 s34, 0x660b4003
	;; [unrolled: 1-line block ×3, first 2 shown]
	v_add_f64 v[17:18], v[15:16], 1.0
	v_add_f64 v[23:24], v[15:16], -1.0
	v_rcp_f64_e32 v[19:20], v[17:18]
	v_add_f64 v[26:27], v[17:18], -1.0
	v_add_f64 v[15:16], v[15:16], -v[26:27]
	v_fma_f64 v[21:22], -v[17:18], v[19:20], 1.0
	v_fma_f64 v[19:20], v[21:22], v[19:20], v[19:20]
	v_fma_f64 v[21:22], -v[17:18], v[19:20], 1.0
	v_fma_f64 v[19:20], v[21:22], v[19:20], v[19:20]
	v_mul_f64 v[21:22], v[23:24], v[19:20]
	v_mul_f64 v[28:29], v[17:18], v[21:22]
	v_fma_f64 v[17:18], v[21:22], v[17:18], -v[28:29]
	v_fma_f64 v[15:16], v[21:22], v[15:16], v[17:18]
	v_add_f64 v[17:18], v[28:29], v[15:16]
	v_add_f64 v[26:27], v[23:24], -v[17:18]
	v_add_f64 v[28:29], v[17:18], -v[28:29]
	;; [unrolled: 1-line block ×5, first 2 shown]
	v_mov_b32_e32 v23, 0x6b47b09a
	v_mov_b32_e32 v24, 0x3fc38538
	v_add_f64 v[15:16], v[15:16], v[17:18]
	v_add_f64 v[15:16], v[26:27], v[15:16]
	v_mul_f64 v[15:16], v[19:20], v[15:16]
	v_add_f64 v[17:18], v[21:22], v[15:16]
	v_mul_f64 v[19:20], v[17:18], v[17:18]
	v_fma_f64 v[23:24], v[19:20], s[20:21], v[23:24]
	s_mov_b32 s20, 0xe896898f
	s_mov_b32 s21, 0x40ce7437
	v_add_f64 v[26:27], v[13:14], s[20:21]
	s_mov_b32 s20, 0x9b27acf1
	s_mov_b32 s21, 0x3fd24924
	v_mul_f64 v[28:29], v[17:18], v[19:20]
	v_fma_f64 v[23:24], v[19:20], v[23:24], s[24:25]
	s_mov_b32 s24, 0xf0284cdd
	s_mov_b32 s25, 0x41f43f78
	v_fma_f64 v[26:27], v[1:2], v[26:27], s[22:23]
	s_mov_b32 s22, 0x5164d101
	s_mov_b32 s23, 0x41b00763
	;; [unrolled: 3-line block ×3, first 2 shown]
	v_fma_f64 v[26:27], v[1:2], v[26:27], s[24:25]
	v_fma_f64 v[23:24], v[19:20], v[23:24], s[20:21]
	s_mov_b32 s20, 0x576dfcb6
	s_mov_b32 s21, 0x40904522
	v_add_f64 v[13:14], v[13:14], s[20:21]
	s_mov_b32 s20, 0x998ef7b6
	s_mov_b32 s21, 0x3fd99999
	v_fma_f64 v[23:24], v[19:20], v[23:24], s[20:21]
	s_mov_b32 s20, 0xa907bc0c
	s_mov_b32 s21, 0x41231b76
	v_fma_f64 v[13:14], v[1:2], v[13:14], s[20:21]
	s_mov_b32 s20, 0xc57e828e
	s_mov_b32 s21, 0x42b275fc
	v_fma_f64 v[19:20], v[19:20], v[23:24], s[18:19]
	v_fma_f64 v[23:24], v[1:2], v[26:27], s[26:27]
	v_ldexp_f64 v[26:27], v[17:18], 1
	v_fma_f64 v[13:14], v[1:2], v[13:14], s[22:23]
	s_mov_b32 s18, 0x2b8664bc
	s_mov_b32 s19, 0x42341ddb
	v_add_f64 v[17:18], v[17:18], -v[21:22]
	s_mov_b32 s22, 0xdfeb596d
	v_mul_f64 v[19:20], v[28:29], v[19:20]
	v_frexp_exp_i32_f64_e32 v28, v[3:4]
	s_mov_b32 s23, 0x43268910
	v_fma_f64 v[3:4], v[1:2], v[13:14], s[18:19]
	v_fma_f64 v[13:14], v[1:2], v[23:24], s[28:29]
	s_mov_b32 s18, 0xfefa39ef
	s_mov_b32 s19, 0x3fe62e42
	v_add_f64 v[15:16], v[15:16], -v[17:18]
	v_add_f64 v[21:22], v[26:27], v[19:20]
	v_subbrev_co_u32_e32 v23, vcc, 0, v28, vcc
	v_cvt_f64_i32_e32 v[23:24], v23
	v_fma_f64 v[3:4], v[1:2], v[3:4], s[20:21]
	v_fma_f64 v[13:14], v[1:2], v[13:14], s[30:31]
	s_mov_b32 s20, 0xbcf9b5d0
	v_mul_f64 v[28:29], v[23:24], s[18:19]
	v_add_f64 v[17:18], v[21:22], -v[26:27]
	v_ldexp_f64 v[15:16], v[15:16], 1
	s_mov_b32 s21, 0x438bd25f
	v_fma_f64 v[3:4], v[1:2], v[3:4], s[22:23]
	v_fma_f64 v[13:14], v[1:2], v[13:14], s[34:35]
	v_fma_f64 v[26:27], v[23:24], s[18:19], -v[28:29]
	v_add_f64 v[17:18], v[19:20], -v[17:18]
	s_mov_b32 s18, 0x5906367b
	s_mov_b32 s19, 0xc3506d4b
	v_fma_f64 v[3:4], v[1:2], v[3:4], s[20:21]
	v_fma_f64 v[1:2], v[1:2], v[13:14], s[18:19]
	s_mov_b32 s18, 0x3b39803f
	s_mov_b32 s19, 0x3c7abc9e
	v_fma_f64 v[13:14], v[23:24], s[18:19], v[26:27]
	v_add_f64 v[15:16], v[15:16], v[17:18]
	v_div_scale_f64 v[17:18], s[18:19], v[3:4], v[3:4], v[1:2]
	s_mov_b32 s18, 0x6dc9c883
	v_add_f64 v[19:20], v[28:29], v[13:14]
	v_add_f64 v[23:24], v[21:22], v[15:16]
	s_mov_b32 s19, 0x3fe45f30
	v_add_f64 v[28:29], v[19:20], -v[28:29]
	v_add_f64 v[26:27], v[19:20], v[23:24]
	v_add_f64 v[21:22], v[23:24], -v[21:22]
	v_rcp_f64_e32 v[30:31], v[17:18]
	v_add_f64 v[13:14], v[13:14], -v[28:29]
	v_add_f64 v[32:33], v[26:27], -v[19:20]
	;; [unrolled: 1-line block ×5, first 2 shown]
	v_add_f64 v[28:29], v[13:14], v[15:16]
	v_fma_f64 v[36:37], -v[17:18], v[30:31], 1.0
	v_add_f64 v[19:20], v[19:20], -v[34:35]
	v_add_f64 v[32:33], v[28:29], -v[13:14]
	v_fma_f64 v[23:24], v[30:31], v[36:37], v[30:31]
	v_div_scale_f64 v[30:31], vcc, v[1:2], v[3:4], v[1:2]
	v_add_f64 v[19:20], v[21:22], v[19:20]
	v_add_f64 v[15:16], v[15:16], -v[32:33]
	v_fma_f64 v[21:22], -v[17:18], v[23:24], 1.0
	v_add_f64 v[19:20], v[28:29], v[19:20]
	v_fma_f64 v[21:22], v[23:24], v[21:22], v[23:24]
	v_add_f64 v[23:24], v[28:29], -v[32:33]
	v_add_f64 v[28:29], v[26:27], v[19:20]
	v_mul_f64 v[34:35], v[30:31], v[21:22]
	v_add_f64 v[13:14], v[13:14], -v[23:24]
	v_add_f64 v[23:24], v[28:29], -v[26:27]
	v_fma_f64 v[17:18], -v[17:18], v[34:35], v[30:31]
	v_add_f64 v[13:14], v[15:16], v[13:14]
	v_add_f64 v[15:16], v[19:20], -v[23:24]
	v_div_fmas_f64 v[17:18], v[17:18], v[21:22], v[34:35]
	v_add_f64 v[13:14], v[13:14], v[15:16]
	v_add_f64 v[13:14], v[28:29], v[13:14]
	v_div_fixup_f64 v[1:2], v[17:18], v[3:4], v[1:2]
	v_mul_f64 v[3:4], v[13:14], s[18:19]
	v_fma_f64 v[11:12], v[3:4], v[11:12], v[1:2]
.LBB5_71:
	s_or_b64 exec, exec, s[16:17]
.LBB5_72:
	s_or_b64 exec, exec, s[14:15]
                                        ; implicit-def: $vgpr3_vgpr4
.LBB5_73:
	s_andn2_saveexec_b64 s[14:15], s[4:5]
	s_cbranch_execz .LBB5_83
; %bb.74:
	s_mov_b32 s19, 0xbfe921fb
	s_mov_b32 s18, 0x54442d18
	v_add_f64 v[1:2], v[3:4], s[18:19]
	s_mov_b32 s4, 0
	s_mov_b32 s5, 0x41d00000
                                        ; implicit-def: $vgpr27
                                        ; implicit-def: $vgpr15_vgpr16
                                        ; implicit-def: $vgpr17_vgpr18
	v_trig_preop_f64 v[23:24], |v[1:2]|, 0
	v_trig_preop_f64 v[21:22], |v[1:2]|, 1
	;; [unrolled: 1-line block ×3, first 2 shown]
	v_cmp_nlt_f64_e64 s[16:17], |v[1:2]|, s[4:5]
	s_and_saveexec_b64 s[4:5], s[16:17]
	s_xor_b64 s[20:21], exec, s[4:5]
	s_cbranch_execz .LBB5_76
; %bb.75:
	s_mov_b32 s4, 0
	s_mov_b32 s5, 0x7b000000
	s_movk_i32 s19, 0xff80
	v_ldexp_f64 v[11:12], |v[1:2]|, s19
	v_cmp_ge_f64_e64 vcc, |v[1:2]|, s[4:5]
	v_and_b32_e32 v13, 0x7fffffff, v2
	s_mov_b32 s4, 0
	s_mov_b32 s5, 0x7ff00000
	v_mov_b32_e32 v39, 0x40100000
	v_mov_b32_e32 v38, 0
	s_mov_b32 s19, 0x3ff921fb
	v_cndmask_b32_e32 v12, v13, v12, vcc
	v_cndmask_b32_e32 v11, v1, v11, vcc
	v_mul_f64 v[13:14], v[23:24], v[11:12]
	v_mul_f64 v[15:16], v[21:22], v[11:12]
	;; [unrolled: 1-line block ×3, first 2 shown]
	v_fma_f64 v[17:18], v[23:24], v[11:12], -v[13:14]
	v_fma_f64 v[34:35], v[21:22], v[11:12], -v[15:16]
	;; [unrolled: 1-line block ×3, first 2 shown]
	v_add_f64 v[26:27], v[15:16], v[17:18]
	v_add_f64 v[28:29], v[26:27], -v[15:16]
	v_add_f64 v[36:37], v[13:14], v[26:27]
	v_add_f64 v[30:31], v[26:27], -v[28:29]
	v_add_f64 v[17:18], v[17:18], -v[28:29]
	v_add_f64 v[28:29], v[32:33], v[34:35]
	v_add_f64 v[13:14], v[36:37], -v[13:14]
	v_add_f64 v[15:16], v[15:16], -v[30:31]
	v_ldexp_f64 v[30:31], v[36:37], -2
	v_add_f64 v[40:41], v[28:29], -v[32:33]
	v_add_f64 v[13:14], v[26:27], -v[13:14]
	v_add_f64 v[15:16], v[17:18], v[15:16]
	v_fract_f64_e32 v[17:18], v[30:31]
	v_cmp_neq_f64_e64 vcc, |v[30:31]|, s[4:5]
	v_add_f64 v[34:35], v[34:35], -v[40:41]
	v_add_f64 v[26:27], v[28:29], v[15:16]
	v_ldexp_f64 v[17:18], v[17:18], 2
	v_add_f64 v[30:31], v[13:14], v[26:27]
	v_cndmask_b32_e32 v18, 0, v18, vcc
	v_cndmask_b32_e32 v17, 0, v17, vcc
	v_add_f64 v[42:43], v[26:27], -v[28:29]
	v_add_f64 v[36:37], v[30:31], v[17:18]
	v_add_f64 v[13:14], v[30:31], -v[13:14]
	v_add_f64 v[44:45], v[26:27], -v[42:43]
	;; [unrolled: 1-line block ×3, first 2 shown]
	v_cmp_gt_f64_e32 vcc, 0, v[36:37]
	v_add_f64 v[36:37], v[28:29], -v[40:41]
	v_add_f64 v[13:14], v[26:27], -v[13:14]
	;; [unrolled: 1-line block ×3, first 2 shown]
	v_cndmask_b32_e32 v39, 0, v39, vcc
	v_add_f64 v[17:18], v[17:18], v[38:39]
	v_add_f64 v[36:37], v[32:33], -v[36:37]
	v_add_f64 v[15:16], v[15:16], v[28:29]
	v_add_f64 v[46:47], v[30:31], v[17:18]
	;; [unrolled: 1-line block ×3, first 2 shown]
	v_cvt_i32_f64_e32 v41, v[46:47]
	v_add_f64 v[15:16], v[34:35], v[15:16]
	v_cvt_f64_i32_e32 v[39:40], v41
	v_add_f64 v[17:18], v[17:18], -v[39:40]
	v_add_f64 v[11:12], v[11:12], v[15:16]
	v_add_f64 v[28:29], v[30:31], v[17:18]
	v_add_f64 v[11:12], v[13:14], v[11:12]
	v_add_f64 v[15:16], v[28:29], -v[17:18]
	v_cmp_le_f64_e32 vcc, 0.5, v[28:29]
	v_add_f64 v[13:14], v[30:31], -v[15:16]
	v_mov_b32_e32 v15, 0x3ff00000
	v_cndmask_b32_e32 v39, 0, v15, vcc
	v_addc_co_u32_e64 v27, s[4:5], 0, v41, vcc
	s_mov_b32 s4, 0x33145c07
	s_mov_b32 s5, 0x3c91a626
	v_add_f64 v[11:12], v[11:12], v[13:14]
	v_add_f64 v[13:14], v[28:29], -v[38:39]
	v_add_f64 v[15:16], v[13:14], v[11:12]
	v_mul_f64 v[17:18], v[15:16], s[18:19]
	v_add_f64 v[13:14], v[15:16], -v[13:14]
	v_fma_f64 v[28:29], v[15:16], s[18:19], -v[17:18]
	v_add_f64 v[11:12], v[11:12], -v[13:14]
	v_fma_f64 v[13:14], v[15:16], s[4:5], v[28:29]
	v_fma_f64 v[11:12], v[11:12], s[18:19], v[13:14]
	v_add_f64 v[15:16], v[17:18], v[11:12]
	v_add_f64 v[13:14], v[15:16], -v[17:18]
	v_add_f64 v[17:18], v[11:12], -v[13:14]
	s_andn2_saveexec_b64 s[4:5], s[20:21]
	s_cbranch_execz .LBB5_78
	s_branch .LBB5_77
.LBB5_76:
	s_andn2_saveexec_b64 s[4:5], s[20:21]
	s_cbranch_execz .LBB5_78
.LBB5_77:
	s_mov_b32 s18, 0x6dc9c883
	s_mov_b32 s19, 0x3fe45f30
	v_mul_f64 v[11:12], |v[1:2]|, s[18:19]
	s_mov_b32 s18, 0x54442d18
	s_mov_b32 s19, 0xbff921fb
	;; [unrolled: 1-line block ×4, first 2 shown]
	v_rndne_f64_e32 v[11:12], v[11:12]
	v_fma_f64 v[13:14], v[11:12], s[18:19], |v[1:2]|
	v_mul_f64 v[15:16], v[11:12], s[20:21]
	s_mov_b32 s18, 0x252049c0
	s_mov_b32 s19, 0xb97b839a
	v_add_f64 v[17:18], v[13:14], v[15:16]
	v_add_f64 v[26:27], v[13:14], -v[17:18]
	v_fma_f64 v[13:14], v[11:12], s[20:21], v[13:14]
	s_mov_b32 s21, 0x3c91a626
	v_add_f64 v[26:27], v[26:27], v[15:16]
	v_add_f64 v[17:18], v[17:18], -v[13:14]
	v_fma_f64 v[15:16], v[11:12], s[20:21], v[15:16]
	v_add_f64 v[17:18], v[17:18], v[26:27]
	v_cvt_i32_f64_e32 v27, v[11:12]
	v_add_f64 v[15:16], v[17:18], -v[15:16]
	v_fma_f64 v[17:18], v[11:12], s[18:19], v[15:16]
	v_add_f64 v[15:16], v[13:14], v[17:18]
	v_add_f64 v[13:14], v[15:16], -v[13:14]
	v_add_f64 v[17:18], v[17:18], -v[13:14]
.LBB5_78:
	s_or_b64 exec, exec, s[4:5]
                                        ; implicit-def: $vgpr26
                                        ; implicit-def: $vgpr11_vgpr12
                                        ; implicit-def: $vgpr13_vgpr14
	s_and_saveexec_b64 s[4:5], s[16:17]
	s_xor_b64 s[16:17], exec, s[4:5]
	s_cbranch_execz .LBB5_80
; %bb.79:
	s_mov_b32 s4, 0
	s_mov_b32 s5, 0x7b000000
	s_movk_i32 s18, 0xff80
	v_ldexp_f64 v[11:12], |v[1:2]|, s18
	v_cmp_ge_f64_e64 vcc, |v[1:2]|, s[4:5]
	v_and_b32_e32 v13, 0x7fffffff, v2
	s_mov_b32 s4, 0
	s_mov_b32 s5, 0x7ff00000
	v_mov_b32_e32 v26, 0x40100000
	v_mov_b32_e32 v40, 0
	s_mov_b32 s18, 0x33145c07
	s_mov_b32 s19, 0x3c91a626
	v_cndmask_b32_e32 v12, v13, v12, vcc
	v_cndmask_b32_e32 v11, v1, v11, vcc
	v_mul_f64 v[13:14], v[23:24], v[11:12]
	v_mul_f64 v[28:29], v[21:22], v[11:12]
	;; [unrolled: 1-line block ×3, first 2 shown]
	v_fma_f64 v[23:24], v[23:24], v[11:12], -v[13:14]
	v_fma_f64 v[21:22], v[21:22], v[11:12], -v[28:29]
	;; [unrolled: 1-line block ×3, first 2 shown]
	v_add_f64 v[30:31], v[28:29], v[23:24]
	v_add_f64 v[32:33], v[30:31], -v[28:29]
	v_add_f64 v[38:39], v[13:14], v[30:31]
	v_add_f64 v[34:35], v[30:31], -v[32:33]
	v_add_f64 v[23:24], v[23:24], -v[32:33]
	v_add_f64 v[32:33], v[36:37], v[21:22]
	v_add_f64 v[13:14], v[38:39], -v[13:14]
	v_add_f64 v[28:29], v[28:29], -v[34:35]
	v_ldexp_f64 v[34:35], v[38:39], -2
	v_add_f64 v[42:43], v[32:33], -v[36:37]
	v_add_f64 v[13:14], v[30:31], -v[13:14]
	v_add_f64 v[23:24], v[23:24], v[28:29]
	v_fract_f64_e32 v[28:29], v[34:35]
	v_cmp_neq_f64_e64 vcc, |v[34:35]|, s[4:5]
	v_add_f64 v[21:22], v[21:22], -v[42:43]
	v_add_f64 v[30:31], v[32:33], v[23:24]
	v_ldexp_f64 v[28:29], v[28:29], 2
	v_add_f64 v[34:35], v[13:14], v[30:31]
	v_cndmask_b32_e32 v29, 0, v29, vcc
	v_cndmask_b32_e32 v28, 0, v28, vcc
	v_add_f64 v[44:45], v[30:31], -v[32:33]
	v_add_f64 v[38:39], v[34:35], v[28:29]
	v_add_f64 v[13:14], v[34:35], -v[13:14]
	v_add_f64 v[46:47], v[30:31], -v[44:45]
	v_add_f64 v[23:24], v[23:24], -v[44:45]
	v_cmp_gt_f64_e32 vcc, 0, v[38:39]
	v_add_f64 v[38:39], v[32:33], -v[42:43]
	v_add_f64 v[13:14], v[30:31], -v[13:14]
	;; [unrolled: 1-line block ×3, first 2 shown]
	v_cndmask_b32_e32 v41, 0, v26, vcc
	v_add_f64 v[28:29], v[28:29], v[40:41]
	v_add_f64 v[38:39], v[36:37], -v[38:39]
	v_add_f64 v[23:24], v[23:24], v[32:33]
	v_add_f64 v[48:49], v[34:35], v[28:29]
	;; [unrolled: 1-line block ×3, first 2 shown]
	v_cvt_i32_f64_e32 v26, v[48:49]
	v_add_f64 v[19:20], v[21:22], v[23:24]
	v_cvt_f64_i32_e32 v[41:42], v26
	v_add_f64 v[28:29], v[28:29], -v[41:42]
	v_add_f64 v[11:12], v[11:12], v[19:20]
	v_add_f64 v[21:22], v[34:35], v[28:29]
	;; [unrolled: 1-line block ×3, first 2 shown]
	v_add_f64 v[19:20], v[21:22], -v[28:29]
	v_cmp_le_f64_e32 vcc, 0.5, v[21:22]
	v_add_f64 v[13:14], v[34:35], -v[19:20]
	v_mov_b32_e32 v19, 0x3ff00000
	v_cndmask_b32_e32 v41, 0, v19, vcc
	v_addc_co_u32_e64 v26, s[4:5], 0, v26, vcc
	s_mov_b32 s4, 0x54442d18
	s_mov_b32 s5, 0x3ff921fb
	v_add_f64 v[11:12], v[11:12], v[13:14]
	v_add_f64 v[13:14], v[21:22], -v[40:41]
	v_add_f64 v[19:20], v[13:14], v[11:12]
	v_mul_f64 v[21:22], v[19:20], s[4:5]
	v_add_f64 v[13:14], v[19:20], -v[13:14]
	v_fma_f64 v[23:24], v[19:20], s[4:5], -v[21:22]
	v_add_f64 v[11:12], v[11:12], -v[13:14]
	v_fma_f64 v[13:14], v[19:20], s[18:19], v[23:24]
	v_fma_f64 v[13:14], v[11:12], s[4:5], v[13:14]
	v_add_f64 v[11:12], v[21:22], v[13:14]
	v_add_f64 v[19:20], v[11:12], -v[21:22]
	v_add_f64 v[13:14], v[13:14], -v[19:20]
	s_andn2_saveexec_b64 s[4:5], s[16:17]
	s_cbranch_execnz .LBB5_81
	s_branch .LBB5_82
.LBB5_80:
	s_andn2_saveexec_b64 s[4:5], s[16:17]
	s_cbranch_execz .LBB5_82
.LBB5_81:
	s_mov_b32 s16, 0x6dc9c883
	s_mov_b32 s17, 0x3fe45f30
	v_mul_f64 v[11:12], |v[1:2]|, s[16:17]
	s_mov_b32 s16, 0x54442d18
	s_mov_b32 s17, 0xbff921fb
	;; [unrolled: 1-line block ×4, first 2 shown]
	v_rndne_f64_e32 v[19:20], v[11:12]
	v_fma_f64 v[11:12], v[19:20], s[16:17], |v[1:2]|
	v_mul_f64 v[13:14], v[19:20], s[18:19]
	s_mov_b32 s16, 0x252049c0
	s_mov_b32 s17, 0xb97b839a
	v_cvt_i32_f64_e32 v26, v[19:20]
	v_fma_f64 v[28:29], v[19:20], s[18:19], v[11:12]
	v_add_f64 v[21:22], v[11:12], v[13:14]
	s_mov_b32 s19, 0x3c91a626
	v_add_f64 v[23:24], v[11:12], -v[21:22]
	v_add_f64 v[21:22], v[21:22], -v[28:29]
	v_add_f64 v[11:12], v[23:24], v[13:14]
	v_fma_f64 v[13:14], v[19:20], s[18:19], v[13:14]
	v_add_f64 v[11:12], v[21:22], v[11:12]
	v_add_f64 v[11:12], v[11:12], -v[13:14]
	v_fma_f64 v[13:14], v[19:20], s[16:17], v[11:12]
	v_add_f64 v[11:12], v[28:29], v[13:14]
	v_add_f64 v[21:22], v[11:12], -v[28:29]
	v_add_f64 v[13:14], v[13:14], -v[21:22]
.LBB5_82:
	s_or_b64 exec, exec, s[4:5]
	v_mul_f64 v[19:20], v[3:4], v[3:4]
	s_mov_b32 s4, 0
	s_mov_b32 s5, 0x40390000
	;; [unrolled: 1-line block ×7, first 2 shown]
	v_div_scale_f64 v[21:22], s[16:17], v[19:20], v[19:20], s[4:5]
	s_mov_b32 s16, 0x46cc5e42
	s_mov_b32 s17, 0xbda907db
	s_mov_b32 s23, 0xbf56c16c
	s_mov_b32 s24, 0x55555555
	s_mov_b32 s25, 0x3fa55555
	s_mov_b32 s26, 0xf9a43bb8
	s_mov_b32 s27, 0x3de5e0b2
	s_mov_b32 s28, 0x796cde01
	s_mov_b32 s29, 0x3ec71de3
	s_mov_b32 s30, 0x19e83e5c
	s_mov_b32 s31, 0xbf2a01a0
	s_mov_b32 s34, 0x11110bb3
	s_mov_b32 s35, 0x3f811111
	v_mul_f64 v[40:41], v[17:18], 0.5
	v_rcp_f64_e32 v[23:24], v[21:22]
	s_mov_b32 s37, 0xbfc55555
	s_mov_b32 s36, s24
	;; [unrolled: 1-line block ×4, first 2 shown]
	v_fma_f64 v[28:29], -v[21:22], v[23:24], 1.0
	v_fma_f64 v[23:24], v[23:24], v[28:29], v[23:24]
	v_fma_f64 v[28:29], -v[21:22], v[23:24], 1.0
	v_fma_f64 v[23:24], v[23:24], v[28:29], v[23:24]
	v_div_scale_f64 v[28:29], vcc, s[4:5], v[19:20], s[4:5]
	v_mul_f64 v[30:31], v[28:29], v[23:24]
	v_fma_f64 v[21:22], -v[21:22], v[30:31], v[28:29]
	s_nop 1
	v_div_fmas_f64 v[21:22], v[21:22], v[23:24], v[30:31]
	v_mov_b32_e32 v30, 0x413c25ac
	v_mov_b32_e32 v31, 0x40501457
	v_div_fixup_f64 v[21:22], v[21:22], v[19:20], s[4:5]
	v_mov_b32_e32 v19, 0x983b6b27
	v_mov_b32_e32 v20, 0x3f4a1d30
	s_mov_b32 s4, 0xb35dd1cf
	s_mov_b32 s5, 0x3fb534b0
	v_fma_f64 v[19:20], v[21:22], 0, v[19:20]
	v_fma_f64 v[30:31], v[21:22], 0, v[30:31]
	;; [unrolled: 1-line block ×3, first 2 shown]
	s_mov_b32 s4, 0x4e680b98
	s_mov_b32 s5, 0x3ff3d521
	v_fma_f64 v[19:20], v[21:22], v[19:20], s[4:5]
	s_mov_b32 s4, 0xe97a0956
	s_mov_b32 s5, 0x4015c9fb
	v_fma_f64 v[19:20], v[21:22], v[19:20], s[4:5]
	;; [unrolled: 3-line block ×4, first 2 shown]
	v_mov_b32_e32 v19, 0xce039737
	v_mov_b32_e32 v20, 0x3f4e4a80
	v_fma_f64 v[19:20], v[21:22], 0, v[19:20]
	s_mov_b32 s4, 0xab5454e3
	s_mov_b32 s5, 0x3fb5ebc5
	v_fma_f64 v[19:20], v[21:22], v[19:20], s[4:5]
	s_mov_b32 s4, 0xc9b3069f
	s_mov_b32 s5, 0x3ff40e72
	;; [unrolled: 3-line block ×6, first 2 shown]
	v_fma_f64 v[28:29], v[21:22], v[19:20], 1.0
	v_mov_b32_e32 v19, 0x38a5384a
	v_mov_b32_e32 v20, 0xbf874742
	v_fma_f64 v[19:20], v[21:22], 0, v[19:20]
	v_fma_f64 v[19:20], v[21:22], v[19:20], s[4:5]
	s_mov_b32 s4, 0xf50e2c0c
	s_mov_b32 s5, 0xc0338dcf
	v_fma_f64 v[19:20], v[21:22], v[19:20], s[4:5]
	s_mov_b32 s4, 0x5a6de8c4
	s_mov_b32 s5, 0xc0574d2f
	;; [unrolled: 3-line block ×12, first 2 shown]
	v_fma_f64 v[30:31], v[21:22], v[30:31], s[4:5]
	v_fma_f64 v[21:22], v[21:22], v[23:24], 1.0
	v_div_scale_f64 v[23:24], s[4:5], v[28:29], v[28:29], v[21:22]
	s_mov_b32 s4, 0x9037ab78
	s_mov_b32 s5, 0x3e21eeb6
	v_rcp_f64_e32 v[32:33], v[23:24]
	v_fma_f64 v[34:35], -v[23:24], v[32:33], 1.0
	v_fma_f64 v[32:33], v[32:33], v[34:35], v[32:33]
	v_fma_f64 v[34:35], -v[23:24], v[32:33], 1.0
	v_fma_f64 v[32:33], v[32:33], v[34:35], v[32:33]
	v_div_scale_f64 v[34:35], vcc, v[21:22], v[28:29], v[21:22]
	v_mul_f64 v[36:37], v[34:35], v[32:33]
	v_fma_f64 v[23:24], -v[23:24], v[36:37], v[34:35]
	s_nop 1
	v_div_fmas_f64 v[23:24], v[23:24], v[32:33], v[36:37]
	v_mov_b32_e32 v37, s5
	v_mov_b32_e32 v36, s4
	s_mov_b32 s4, 0xb42fdfa7
	s_mov_b32 s5, 0xbe5ae600
	v_div_fixup_f64 v[21:22], v[23:24], v[28:29], v[21:22]
	v_mul_f64 v[23:24], v[15:16], v[15:16]
	v_mul_f64 v[28:29], v[23:24], 0.5
	v_fma_f64 v[38:39], v[23:24], s[16:17], v[36:37]
	v_add_f64 v[32:33], -v[28:29], 1.0
	v_fma_f64 v[38:39], v[23:24], v[38:39], s[18:19]
	v_add_f64 v[34:35], -v[32:33], 1.0
	v_fma_f64 v[38:39], v[23:24], v[38:39], s[20:21]
	v_add_f64 v[28:29], v[34:35], -v[28:29]
	v_fma_f64 v[38:39], v[23:24], v[38:39], s[22:23]
	v_mul_f64 v[34:35], v[23:24], v[23:24]
	v_fma_f64 v[28:29], v[15:16], -v[17:18], v[28:29]
	v_fma_f64 v[38:39], v[23:24], v[38:39], s[24:25]
	v_fma_f64 v[28:29], v[34:35], v[38:39], v[28:29]
	v_mul_f64 v[38:39], v[15:16], -v[23:24]
	v_add_f64 v[28:29], v[32:33], v[28:29]
	v_mov_b32_e32 v33, s5
	v_mov_b32_e32 v32, s4
	v_fma_f64 v[34:35], v[23:24], s[26:27], v[32:33]
	s_movk_i32 s4, 0x1f8
	v_cmp_class_f64_e64 s[4:5], v[1:2], s4
	v_fma_f64 v[34:35], v[23:24], v[34:35], s[28:29]
	v_fma_f64 v[34:35], v[23:24], v[34:35], s[30:31]
	;; [unrolled: 1-line block ×4, first 2 shown]
	v_fma_f64 v[17:18], v[23:24], v[34:35], -v[17:18]
	v_fma_f64 v[17:18], v[38:39], s[36:37], v[17:18]
	v_mov_b32_e32 v38, 0x7ff80000
	v_add_f64 v[15:16], v[15:16], -v[17:18]
	v_and_b32_e32 v17, 1, v27
	v_cmp_eq_u32_e32 vcc, 0, v17
	v_lshlrev_b32_e32 v17, 30, v27
	v_xor_b32_e32 v17, v17, v2
	v_and_b32_e32 v17, 0x80000000, v17
	v_cndmask_b32_e32 v16, v29, v16, vcc
	v_cndmask_b32_e32 v15, v28, v15, vcc
	v_xor_b32_e32 v16, v16, v17
	v_cndmask_b32_e64 v1, 0, v15, s[4:5]
	v_cndmask_b32_e64 v2, v38, v16, s[4:5]
	v_div_scale_f64 v[15:16], s[40:41], v[3:4], v[3:4], s[38:39]
	v_rcp_f64_e32 v[17:18], v[15:16]
	v_fma_f64 v[23:24], -v[15:16], v[17:18], 1.0
	v_fma_f64 v[17:18], v[17:18], v[23:24], v[17:18]
	v_fma_f64 v[23:24], -v[15:16], v[17:18], 1.0
	v_fma_f64 v[17:18], v[17:18], v[23:24], v[17:18]
	v_div_scale_f64 v[23:24], vcc, s[38:39], v[3:4], s[38:39]
	v_mul_f64 v[27:28], v[23:24], v[17:18]
	v_fma_f64 v[15:16], -v[15:16], v[27:28], v[23:24]
	s_nop 1
	v_div_fmas_f64 v[15:16], v[15:16], v[17:18], v[27:28]
	v_div_fixup_f64 v[15:16], v[15:16], v[3:4], s[38:39]
	v_div_scale_f64 v[17:18], s[38:39], v[30:31], v[30:31], v[19:20]
	v_rcp_f64_e32 v[23:24], v[17:18]
	v_fma_f64 v[27:28], -v[17:18], v[23:24], 1.0
	v_fma_f64 v[23:24], v[23:24], v[27:28], v[23:24]
	v_fma_f64 v[27:28], -v[17:18], v[23:24], 1.0
	v_fma_f64 v[23:24], v[23:24], v[27:28], v[23:24]
	v_div_scale_f64 v[27:28], vcc, v[19:20], v[30:31], v[19:20]
	v_mul_f64 v[34:35], v[27:28], v[23:24]
	v_fma_f64 v[17:18], -v[17:18], v[34:35], v[27:28]
	s_nop 1
	v_div_fmas_f64 v[17:18], v[17:18], v[23:24], v[34:35]
	v_div_fixup_f64 v[17:18], v[17:18], v[30:31], v[19:20]
	v_mul_f64 v[15:16], v[15:16], v[17:18]
	v_mul_f64 v[17:18], v[11:12], v[11:12]
	v_mul_f64 v[19:20], v[17:18], 0.5
	v_fma_f64 v[29:30], v[17:18], s[16:17], v[36:37]
	v_add_f64 v[23:24], -v[19:20], 1.0
	v_fma_f64 v[29:30], v[17:18], v[29:30], s[18:19]
	v_add_f64 v[27:28], -v[23:24], 1.0
	v_fma_f64 v[29:30], v[17:18], v[29:30], s[20:21]
	v_add_f64 v[19:20], v[27:28], -v[19:20]
	v_fma_f64 v[29:30], v[17:18], v[29:30], s[22:23]
	v_mul_f64 v[27:28], v[17:18], v[17:18]
	v_fma_f64 v[19:20], v[11:12], -v[13:14], v[19:20]
	v_fma_f64 v[29:30], v[17:18], v[29:30], s[24:25]
	v_fma_f64 v[19:20], v[27:28], v[29:30], v[19:20]
	v_mul_f64 v[27:28], v[11:12], -v[17:18]
	v_mul_f64 v[29:30], v[13:14], 0.5
	v_add_f64 v[19:20], v[23:24], v[19:20]
	v_fma_f64 v[23:24], v[17:18], s[26:27], v[32:33]
	v_fma_f64 v[23:24], v[17:18], v[23:24], s[28:29]
	;; [unrolled: 1-line block ×5, first 2 shown]
	v_fma_f64 v[13:14], v[17:18], v[23:24], -v[13:14]
	v_fma_f64 v[13:14], v[27:28], s[36:37], v[13:14]
	v_add_f64 v[11:12], v[11:12], -v[13:14]
	v_and_b32_e32 v13, 1, v26
	v_cmp_eq_u32_e32 vcc, 0, v13
	v_lshlrev_b32_e32 v13, 30, v26
	v_and_b32_e32 v13, 0x80000000, v13
	v_xor_b32_e32 v12, 0x80000000, v12
	v_cndmask_b32_e32 v12, v12, v20, vcc
	v_cndmask_b32_e32 v11, v11, v19, vcc
	v_xor_b32_e32 v12, v12, v13
	v_cndmask_b32_e64 v11, 0, v11, s[4:5]
	v_cndmask_b32_e64 v12, v38, v12, s[4:5]
	v_mul_f64 v[11:12], v[15:16], v[11:12]
	s_mov_b32 s4, 0x33d43651
	s_mov_b32 s5, 0x3fe98845
	v_fma_f64 v[1:2], v[21:22], v[1:2], v[11:12]
	v_mov_b32_e32 v11, 0x100
	v_mul_f64 v[1:2], v[1:2], s[4:5]
	s_mov_b32 s4, 0
	s_brev_b32 s5, 8
	v_cmp_gt_f64_e32 vcc, s[4:5], v[3:4]
	v_cndmask_b32_e32 v11, 0, v11, vcc
	v_ldexp_f64 v[3:4], v[3:4], v11
	v_rsq_f64_e32 v[11:12], v[3:4]
	v_mul_f64 v[13:14], v[3:4], v[11:12]
	v_mul_f64 v[11:12], v[11:12], 0.5
	v_fma_f64 v[15:16], -v[11:12], v[13:14], 0.5
	v_fma_f64 v[13:14], v[13:14], v[15:16], v[13:14]
	v_fma_f64 v[11:12], v[11:12], v[15:16], v[11:12]
	v_fma_f64 v[17:18], -v[13:14], v[13:14], v[3:4]
	v_fma_f64 v[13:14], v[17:18], v[11:12], v[13:14]
	v_fma_f64 v[15:16], -v[13:14], v[13:14], v[3:4]
	v_fma_f64 v[11:12], v[15:16], v[11:12], v[13:14]
	v_mov_b32_e32 v13, 0xffffff80
	v_cndmask_b32_e32 v13, 0, v13, vcc
	v_ldexp_f64 v[11:12], v[11:12], v13
	v_mov_b32_e32 v13, 0x260
	v_cmp_class_f64_e32 vcc, v[3:4], v13
	v_cndmask_b32_e32 v4, v12, v4, vcc
	v_cndmask_b32_e32 v3, v11, v3, vcc
	v_div_scale_f64 v[11:12], s[4:5], v[3:4], v[3:4], v[1:2]
	v_rcp_f64_e32 v[13:14], v[11:12]
	v_fma_f64 v[15:16], -v[11:12], v[13:14], 1.0
	v_fma_f64 v[13:14], v[13:14], v[15:16], v[13:14]
	v_fma_f64 v[15:16], -v[11:12], v[13:14], 1.0
	v_fma_f64 v[13:14], v[13:14], v[15:16], v[13:14]
	v_div_scale_f64 v[15:16], vcc, v[1:2], v[3:4], v[1:2]
	v_mul_f64 v[17:18], v[15:16], v[13:14]
	v_fma_f64 v[11:12], -v[11:12], v[17:18], v[15:16]
	s_nop 1
	v_div_fmas_f64 v[11:12], v[11:12], v[13:14], v[17:18]
	v_div_fixup_f64 v[11:12], v[11:12], v[3:4], v[1:2]
.LBB5_83:
	s_or_b64 exec, exec, s[14:15]
	s_add_u32 s4, s8, s12
	s_addc_u32 s5, s9, s13
	v_mov_b32_e32 v1, s5
	v_add_co_u32_e32 v2, vcc, s4, v25
	v_addc_co_u32_e32 v3, vcc, 0, v1, vcc
	v_add_co_u32_e32 v1, vcc, 0x1000, v2
	v_addc_co_u32_e32 v2, vcc, 0, v3, vcc
	global_store_dwordx4 v25, v[5:8], s[4:5]
	global_store_dwordx4 v[1:2], v[9:12], off
.LBB5_84:
	s_endpgm
	.section	.rodata,"a",@progbits
	.p2align	6, 0x0
	.amdhsa_kernel _ZN2at6native29vectorized_elementwise_kernelILi2EZZZNS0_12_GLOBAL__N_121bessel_y0_kernel_cudaERNS_18TensorIteratorBaseEENKUlvE_clEvENKUlvE_clEvEUldE_St5arrayIPcLm2EEEEviT0_T1_
		.amdhsa_group_segment_fixed_size 0
		.amdhsa_private_segment_fixed_size 0
		.amdhsa_kernarg_size 24
		.amdhsa_user_sgpr_count 6
		.amdhsa_user_sgpr_private_segment_buffer 1
		.amdhsa_user_sgpr_dispatch_ptr 0
		.amdhsa_user_sgpr_queue_ptr 0
		.amdhsa_user_sgpr_kernarg_segment_ptr 1
		.amdhsa_user_sgpr_dispatch_id 0
		.amdhsa_user_sgpr_flat_scratch_init 0
		.amdhsa_user_sgpr_private_segment_size 0
		.amdhsa_uses_dynamic_stack 0
		.amdhsa_system_sgpr_private_segment_wavefront_offset 0
		.amdhsa_system_sgpr_workgroup_id_x 1
		.amdhsa_system_sgpr_workgroup_id_y 0
		.amdhsa_system_sgpr_workgroup_id_z 0
		.amdhsa_system_sgpr_workgroup_info 0
		.amdhsa_system_vgpr_workitem_id 0
		.amdhsa_next_free_vgpr 82
		.amdhsa_next_free_sgpr 48
		.amdhsa_reserve_vcc 1
		.amdhsa_reserve_flat_scratch 0
		.amdhsa_float_round_mode_32 0
		.amdhsa_float_round_mode_16_64 0
		.amdhsa_float_denorm_mode_32 3
		.amdhsa_float_denorm_mode_16_64 3
		.amdhsa_dx10_clamp 1
		.amdhsa_ieee_mode 1
		.amdhsa_fp16_overflow 0
		.amdhsa_exception_fp_ieee_invalid_op 0
		.amdhsa_exception_fp_denorm_src 0
		.amdhsa_exception_fp_ieee_div_zero 0
		.amdhsa_exception_fp_ieee_overflow 0
		.amdhsa_exception_fp_ieee_underflow 0
		.amdhsa_exception_fp_ieee_inexact 0
		.amdhsa_exception_int_div_zero 0
	.end_amdhsa_kernel
	.section	.text._ZN2at6native29vectorized_elementwise_kernelILi2EZZZNS0_12_GLOBAL__N_121bessel_y0_kernel_cudaERNS_18TensorIteratorBaseEENKUlvE_clEvENKUlvE_clEvEUldE_St5arrayIPcLm2EEEEviT0_T1_,"axG",@progbits,_ZN2at6native29vectorized_elementwise_kernelILi2EZZZNS0_12_GLOBAL__N_121bessel_y0_kernel_cudaERNS_18TensorIteratorBaseEENKUlvE_clEvENKUlvE_clEvEUldE_St5arrayIPcLm2EEEEviT0_T1_,comdat
.Lfunc_end5:
	.size	_ZN2at6native29vectorized_elementwise_kernelILi2EZZZNS0_12_GLOBAL__N_121bessel_y0_kernel_cudaERNS_18TensorIteratorBaseEENKUlvE_clEvENKUlvE_clEvEUldE_St5arrayIPcLm2EEEEviT0_T1_, .Lfunc_end5-_ZN2at6native29vectorized_elementwise_kernelILi2EZZZNS0_12_GLOBAL__N_121bessel_y0_kernel_cudaERNS_18TensorIteratorBaseEENKUlvE_clEvENKUlvE_clEvEUldE_St5arrayIPcLm2EEEEviT0_T1_
                                        ; -- End function
	.set _ZN2at6native29vectorized_elementwise_kernelILi2EZZZNS0_12_GLOBAL__N_121bessel_y0_kernel_cudaERNS_18TensorIteratorBaseEENKUlvE_clEvENKUlvE_clEvEUldE_St5arrayIPcLm2EEEEviT0_T1_.num_vgpr, max(50, .L_ZN2at6native25elementwise_kernel_helperILb0EZZZNS0_12_GLOBAL__N_121bessel_y0_kernel_cudaERNS_18TensorIteratorBaseEENKUlvE_clEvENKUlvE_clEvEUldE_NS0_6memory8policies11unroll_baseILi256ESt5arrayIPcLm2EE23TrivialOffsetCalculatorILi1EjESF_NS8_15LoadWithoutCastENS8_16StoreWithoutCastELi4ELi1EEEEEvT0_T1_.num_vgpr)
	.set _ZN2at6native29vectorized_elementwise_kernelILi2EZZZNS0_12_GLOBAL__N_121bessel_y0_kernel_cudaERNS_18TensorIteratorBaseEENKUlvE_clEvENKUlvE_clEvEUldE_St5arrayIPcLm2EEEEviT0_T1_.num_agpr, max(0, .L_ZN2at6native25elementwise_kernel_helperILb0EZZZNS0_12_GLOBAL__N_121bessel_y0_kernel_cudaERNS_18TensorIteratorBaseEENKUlvE_clEvENKUlvE_clEvEUldE_NS0_6memory8policies11unroll_baseILi256ESt5arrayIPcLm2EE23TrivialOffsetCalculatorILi1EjESF_NS8_15LoadWithoutCastENS8_16StoreWithoutCastELi4ELi1EEEEEvT0_T1_.num_agpr)
	.set _ZN2at6native29vectorized_elementwise_kernelILi2EZZZNS0_12_GLOBAL__N_121bessel_y0_kernel_cudaERNS_18TensorIteratorBaseEENKUlvE_clEvENKUlvE_clEvEUldE_St5arrayIPcLm2EEEEviT0_T1_.numbered_sgpr, max(42, .L_ZN2at6native25elementwise_kernel_helperILb0EZZZNS0_12_GLOBAL__N_121bessel_y0_kernel_cudaERNS_18TensorIteratorBaseEENKUlvE_clEvENKUlvE_clEvEUldE_NS0_6memory8policies11unroll_baseILi256ESt5arrayIPcLm2EE23TrivialOffsetCalculatorILi1EjESF_NS8_15LoadWithoutCastENS8_16StoreWithoutCastELi4ELi1EEEEEvT0_T1_.numbered_sgpr)
	.set _ZN2at6native29vectorized_elementwise_kernelILi2EZZZNS0_12_GLOBAL__N_121bessel_y0_kernel_cudaERNS_18TensorIteratorBaseEENKUlvE_clEvENKUlvE_clEvEUldE_St5arrayIPcLm2EEEEviT0_T1_.num_named_barrier, max(0, .L_ZN2at6native25elementwise_kernel_helperILb0EZZZNS0_12_GLOBAL__N_121bessel_y0_kernel_cudaERNS_18TensorIteratorBaseEENKUlvE_clEvENKUlvE_clEvEUldE_NS0_6memory8policies11unroll_baseILi256ESt5arrayIPcLm2EE23TrivialOffsetCalculatorILi1EjESF_NS8_15LoadWithoutCastENS8_16StoreWithoutCastELi4ELi1EEEEEvT0_T1_.num_named_barrier)
	.set _ZN2at6native29vectorized_elementwise_kernelILi2EZZZNS0_12_GLOBAL__N_121bessel_y0_kernel_cudaERNS_18TensorIteratorBaseEENKUlvE_clEvENKUlvE_clEvEUldE_St5arrayIPcLm2EEEEviT0_T1_.private_seg_size, 0+max(.L_ZN2at6native25elementwise_kernel_helperILb0EZZZNS0_12_GLOBAL__N_121bessel_y0_kernel_cudaERNS_18TensorIteratorBaseEENKUlvE_clEvENKUlvE_clEvEUldE_NS0_6memory8policies11unroll_baseILi256ESt5arrayIPcLm2EE23TrivialOffsetCalculatorILi1EjESF_NS8_15LoadWithoutCastENS8_16StoreWithoutCastELi4ELi1EEEEEvT0_T1_.private_seg_size)
	.set _ZN2at6native29vectorized_elementwise_kernelILi2EZZZNS0_12_GLOBAL__N_121bessel_y0_kernel_cudaERNS_18TensorIteratorBaseEENKUlvE_clEvENKUlvE_clEvEUldE_St5arrayIPcLm2EEEEviT0_T1_.uses_vcc, or(1, .L_ZN2at6native25elementwise_kernel_helperILb0EZZZNS0_12_GLOBAL__N_121bessel_y0_kernel_cudaERNS_18TensorIteratorBaseEENKUlvE_clEvENKUlvE_clEvEUldE_NS0_6memory8policies11unroll_baseILi256ESt5arrayIPcLm2EE23TrivialOffsetCalculatorILi1EjESF_NS8_15LoadWithoutCastENS8_16StoreWithoutCastELi4ELi1EEEEEvT0_T1_.uses_vcc)
	.set _ZN2at6native29vectorized_elementwise_kernelILi2EZZZNS0_12_GLOBAL__N_121bessel_y0_kernel_cudaERNS_18TensorIteratorBaseEENKUlvE_clEvENKUlvE_clEvEUldE_St5arrayIPcLm2EEEEviT0_T1_.uses_flat_scratch, or(0, .L_ZN2at6native25elementwise_kernel_helperILb0EZZZNS0_12_GLOBAL__N_121bessel_y0_kernel_cudaERNS_18TensorIteratorBaseEENKUlvE_clEvENKUlvE_clEvEUldE_NS0_6memory8policies11unroll_baseILi256ESt5arrayIPcLm2EE23TrivialOffsetCalculatorILi1EjESF_NS8_15LoadWithoutCastENS8_16StoreWithoutCastELi4ELi1EEEEEvT0_T1_.uses_flat_scratch)
	.set _ZN2at6native29vectorized_elementwise_kernelILi2EZZZNS0_12_GLOBAL__N_121bessel_y0_kernel_cudaERNS_18TensorIteratorBaseEENKUlvE_clEvENKUlvE_clEvEUldE_St5arrayIPcLm2EEEEviT0_T1_.has_dyn_sized_stack, or(0, .L_ZN2at6native25elementwise_kernel_helperILb0EZZZNS0_12_GLOBAL__N_121bessel_y0_kernel_cudaERNS_18TensorIteratorBaseEENKUlvE_clEvENKUlvE_clEvEUldE_NS0_6memory8policies11unroll_baseILi256ESt5arrayIPcLm2EE23TrivialOffsetCalculatorILi1EjESF_NS8_15LoadWithoutCastENS8_16StoreWithoutCastELi4ELi1EEEEEvT0_T1_.has_dyn_sized_stack)
	.set _ZN2at6native29vectorized_elementwise_kernelILi2EZZZNS0_12_GLOBAL__N_121bessel_y0_kernel_cudaERNS_18TensorIteratorBaseEENKUlvE_clEvENKUlvE_clEvEUldE_St5arrayIPcLm2EEEEviT0_T1_.has_recursion, or(0, .L_ZN2at6native25elementwise_kernel_helperILb0EZZZNS0_12_GLOBAL__N_121bessel_y0_kernel_cudaERNS_18TensorIteratorBaseEENKUlvE_clEvENKUlvE_clEvEUldE_NS0_6memory8policies11unroll_baseILi256ESt5arrayIPcLm2EE23TrivialOffsetCalculatorILi1EjESF_NS8_15LoadWithoutCastENS8_16StoreWithoutCastELi4ELi1EEEEEvT0_T1_.has_recursion)
	.set _ZN2at6native29vectorized_elementwise_kernelILi2EZZZNS0_12_GLOBAL__N_121bessel_y0_kernel_cudaERNS_18TensorIteratorBaseEENKUlvE_clEvENKUlvE_clEvEUldE_St5arrayIPcLm2EEEEviT0_T1_.has_indirect_call, or(0, .L_ZN2at6native25elementwise_kernel_helperILb0EZZZNS0_12_GLOBAL__N_121bessel_y0_kernel_cudaERNS_18TensorIteratorBaseEENKUlvE_clEvENKUlvE_clEvEUldE_NS0_6memory8policies11unroll_baseILi256ESt5arrayIPcLm2EE23TrivialOffsetCalculatorILi1EjESF_NS8_15LoadWithoutCastENS8_16StoreWithoutCastELi4ELi1EEEEEvT0_T1_.has_indirect_call)
	.section	.AMDGPU.csdata,"",@progbits
; Kernel info:
; codeLenInByte = 22552
; TotalNumSgprs: 52
; NumVgprs: 82
; ScratchSize: 0
; MemoryBound: 0
; FloatMode: 240
; IeeeMode: 1
; LDSByteSize: 0 bytes/workgroup (compile time only)
; SGPRBlocks: 6
; VGPRBlocks: 20
; NumSGPRsForWavesPerEU: 52
; NumVGPRsForWavesPerEU: 82
; Occupancy: 3
; WaveLimiterHint : 1
; COMPUTE_PGM_RSRC2:SCRATCH_EN: 0
; COMPUTE_PGM_RSRC2:USER_SGPR: 6
; COMPUTE_PGM_RSRC2:TRAP_HANDLER: 0
; COMPUTE_PGM_RSRC2:TGID_X_EN: 1
; COMPUTE_PGM_RSRC2:TGID_Y_EN: 0
; COMPUTE_PGM_RSRC2:TGID_Z_EN: 0
; COMPUTE_PGM_RSRC2:TIDIG_COMP_CNT: 0
	.section	.text._ZN2at6native27unrolled_elementwise_kernelIZZZNS0_12_GLOBAL__N_121bessel_y0_kernel_cudaERNS_18TensorIteratorBaseEENKUlvE_clEvENKUlvE_clEvEUldE_St5arrayIPcLm2EELi4E23TrivialOffsetCalculatorILi1EjESC_NS0_6memory15LoadWithoutCastENSD_16StoreWithoutCastEEEviT_T0_T2_T3_T4_T5_,"axG",@progbits,_ZN2at6native27unrolled_elementwise_kernelIZZZNS0_12_GLOBAL__N_121bessel_y0_kernel_cudaERNS_18TensorIteratorBaseEENKUlvE_clEvENKUlvE_clEvEUldE_St5arrayIPcLm2EELi4E23TrivialOffsetCalculatorILi1EjESC_NS0_6memory15LoadWithoutCastENSD_16StoreWithoutCastEEEviT_T0_T2_T3_T4_T5_,comdat
	.globl	_ZN2at6native27unrolled_elementwise_kernelIZZZNS0_12_GLOBAL__N_121bessel_y0_kernel_cudaERNS_18TensorIteratorBaseEENKUlvE_clEvENKUlvE_clEvEUldE_St5arrayIPcLm2EELi4E23TrivialOffsetCalculatorILi1EjESC_NS0_6memory15LoadWithoutCastENSD_16StoreWithoutCastEEEviT_T0_T2_T3_T4_T5_ ; -- Begin function _ZN2at6native27unrolled_elementwise_kernelIZZZNS0_12_GLOBAL__N_121bessel_y0_kernel_cudaERNS_18TensorIteratorBaseEENKUlvE_clEvENKUlvE_clEvEUldE_St5arrayIPcLm2EELi4E23TrivialOffsetCalculatorILi1EjESC_NS0_6memory15LoadWithoutCastENSD_16StoreWithoutCastEEEviT_T0_T2_T3_T4_T5_
	.p2align	8
	.type	_ZN2at6native27unrolled_elementwise_kernelIZZZNS0_12_GLOBAL__N_121bessel_y0_kernel_cudaERNS_18TensorIteratorBaseEENKUlvE_clEvENKUlvE_clEvEUldE_St5arrayIPcLm2EELi4E23TrivialOffsetCalculatorILi1EjESC_NS0_6memory15LoadWithoutCastENSD_16StoreWithoutCastEEEviT_T0_T2_T3_T4_T5_,@function
_ZN2at6native27unrolled_elementwise_kernelIZZZNS0_12_GLOBAL__N_121bessel_y0_kernel_cudaERNS_18TensorIteratorBaseEENKUlvE_clEvENKUlvE_clEvEUldE_St5arrayIPcLm2EELi4E23TrivialOffsetCalculatorILi1EjESC_NS0_6memory15LoadWithoutCastENSD_16StoreWithoutCastEEEviT_T0_T2_T3_T4_T5_: ; @_ZN2at6native27unrolled_elementwise_kernelIZZZNS0_12_GLOBAL__N_121bessel_y0_kernel_cudaERNS_18TensorIteratorBaseEENKUlvE_clEvENKUlvE_clEvEUldE_St5arrayIPcLm2EELi4E23TrivialOffsetCalculatorILi1EjESC_NS0_6memory15LoadWithoutCastENSD_16StoreWithoutCastEEEviT_T0_T2_T3_T4_T5_
; %bb.0:
	s_add_u32 s0, s0, s7
	s_load_dword s7, s[4:5], 0x0
	s_load_dwordx4 s[8:11], s[4:5], 0x8
	s_addc_u32 s1, s1, 0
	s_lshl_b32 s4, s6, 10
	s_mov_b32 s12, s6
	s_waitcnt lgkmcnt(0)
	s_sub_i32 s7, s7, s4
	s_getpc_b64 s[4:5]
	s_add_u32 s4, s4, _ZN2at6native25elementwise_kernel_helperILb0EZZZNS0_12_GLOBAL__N_121bessel_y0_kernel_cudaERNS_18TensorIteratorBaseEENKUlvE_clEvENKUlvE_clEvEUldE_NS0_6memory8policies11unroll_baseILi256ESt5arrayIPcLm2EE23TrivialOffsetCalculatorILi1EjESF_NS8_15LoadWithoutCastENS8_16StoreWithoutCastELi4ELi1EEEEEvT0_T1_@rel32@lo+4
	s_addc_u32 s5, s5, _ZN2at6native25elementwise_kernel_helperILb0EZZZNS0_12_GLOBAL__N_121bessel_y0_kernel_cudaERNS_18TensorIteratorBaseEENKUlvE_clEvENKUlvE_clEvEUldE_NS0_6memory8policies11unroll_baseILi256ESt5arrayIPcLm2EE23TrivialOffsetCalculatorILi1EjESF_NS8_15LoadWithoutCastENS8_16StoreWithoutCastELi4ELi1EEEEEvT0_T1_@rel32@hi+12
	v_mov_b32_e32 v31, v0
	v_mov_b32_e32 v0, s8
	;; [unrolled: 1-line block ×6, first 2 shown]
	s_mov_b32 s32, 0
	s_swappc_b64 s[30:31], s[4:5]
	s_endpgm
	.section	.rodata,"a",@progbits
	.p2align	6, 0x0
	.amdhsa_kernel _ZN2at6native27unrolled_elementwise_kernelIZZZNS0_12_GLOBAL__N_121bessel_y0_kernel_cudaERNS_18TensorIteratorBaseEENKUlvE_clEvENKUlvE_clEvEUldE_St5arrayIPcLm2EELi4E23TrivialOffsetCalculatorILi1EjESC_NS0_6memory15LoadWithoutCastENSD_16StoreWithoutCastEEEviT_T0_T2_T3_T4_T5_
		.amdhsa_group_segment_fixed_size 0
		.amdhsa_private_segment_fixed_size 0
		.amdhsa_kernarg_size 28
		.amdhsa_user_sgpr_count 6
		.amdhsa_user_sgpr_private_segment_buffer 1
		.amdhsa_user_sgpr_dispatch_ptr 0
		.amdhsa_user_sgpr_queue_ptr 0
		.amdhsa_user_sgpr_kernarg_segment_ptr 1
		.amdhsa_user_sgpr_dispatch_id 0
		.amdhsa_user_sgpr_flat_scratch_init 0
		.amdhsa_user_sgpr_private_segment_size 0
		.amdhsa_uses_dynamic_stack 0
		.amdhsa_system_sgpr_private_segment_wavefront_offset 0
		.amdhsa_system_sgpr_workgroup_id_x 1
		.amdhsa_system_sgpr_workgroup_id_y 0
		.amdhsa_system_sgpr_workgroup_id_z 0
		.amdhsa_system_sgpr_workgroup_info 0
		.amdhsa_system_vgpr_workitem_id 0
		.amdhsa_next_free_vgpr 82
		.amdhsa_next_free_sgpr 48
		.amdhsa_reserve_vcc 1
		.amdhsa_reserve_flat_scratch 0
		.amdhsa_float_round_mode_32 0
		.amdhsa_float_round_mode_16_64 0
		.amdhsa_float_denorm_mode_32 3
		.amdhsa_float_denorm_mode_16_64 3
		.amdhsa_dx10_clamp 1
		.amdhsa_ieee_mode 1
		.amdhsa_fp16_overflow 0
		.amdhsa_exception_fp_ieee_invalid_op 0
		.amdhsa_exception_fp_denorm_src 0
		.amdhsa_exception_fp_ieee_div_zero 0
		.amdhsa_exception_fp_ieee_overflow 0
		.amdhsa_exception_fp_ieee_underflow 0
		.amdhsa_exception_fp_ieee_inexact 0
		.amdhsa_exception_int_div_zero 0
	.end_amdhsa_kernel
	.section	.text._ZN2at6native27unrolled_elementwise_kernelIZZZNS0_12_GLOBAL__N_121bessel_y0_kernel_cudaERNS_18TensorIteratorBaseEENKUlvE_clEvENKUlvE_clEvEUldE_St5arrayIPcLm2EELi4E23TrivialOffsetCalculatorILi1EjESC_NS0_6memory15LoadWithoutCastENSD_16StoreWithoutCastEEEviT_T0_T2_T3_T4_T5_,"axG",@progbits,_ZN2at6native27unrolled_elementwise_kernelIZZZNS0_12_GLOBAL__N_121bessel_y0_kernel_cudaERNS_18TensorIteratorBaseEENKUlvE_clEvENKUlvE_clEvEUldE_St5arrayIPcLm2EELi4E23TrivialOffsetCalculatorILi1EjESC_NS0_6memory15LoadWithoutCastENSD_16StoreWithoutCastEEEviT_T0_T2_T3_T4_T5_,comdat
.Lfunc_end6:
	.size	_ZN2at6native27unrolled_elementwise_kernelIZZZNS0_12_GLOBAL__N_121bessel_y0_kernel_cudaERNS_18TensorIteratorBaseEENKUlvE_clEvENKUlvE_clEvEUldE_St5arrayIPcLm2EELi4E23TrivialOffsetCalculatorILi1EjESC_NS0_6memory15LoadWithoutCastENSD_16StoreWithoutCastEEEviT_T0_T2_T3_T4_T5_, .Lfunc_end6-_ZN2at6native27unrolled_elementwise_kernelIZZZNS0_12_GLOBAL__N_121bessel_y0_kernel_cudaERNS_18TensorIteratorBaseEENKUlvE_clEvENKUlvE_clEvEUldE_St5arrayIPcLm2EELi4E23TrivialOffsetCalculatorILi1EjESC_NS0_6memory15LoadWithoutCastENSD_16StoreWithoutCastEEEviT_T0_T2_T3_T4_T5_
                                        ; -- End function
	.set _ZN2at6native27unrolled_elementwise_kernelIZZZNS0_12_GLOBAL__N_121bessel_y0_kernel_cudaERNS_18TensorIteratorBaseEENKUlvE_clEvENKUlvE_clEvEUldE_St5arrayIPcLm2EELi4E23TrivialOffsetCalculatorILi1EjESC_NS0_6memory15LoadWithoutCastENSD_16StoreWithoutCastEEEviT_T0_T2_T3_T4_T5_.num_vgpr, max(32, .L_ZN2at6native25elementwise_kernel_helperILb0EZZZNS0_12_GLOBAL__N_121bessel_y0_kernel_cudaERNS_18TensorIteratorBaseEENKUlvE_clEvENKUlvE_clEvEUldE_NS0_6memory8policies11unroll_baseILi256ESt5arrayIPcLm2EE23TrivialOffsetCalculatorILi1EjESF_NS8_15LoadWithoutCastENS8_16StoreWithoutCastELi4ELi1EEEEEvT0_T1_.num_vgpr)
	.set _ZN2at6native27unrolled_elementwise_kernelIZZZNS0_12_GLOBAL__N_121bessel_y0_kernel_cudaERNS_18TensorIteratorBaseEENKUlvE_clEvENKUlvE_clEvEUldE_St5arrayIPcLm2EELi4E23TrivialOffsetCalculatorILi1EjESC_NS0_6memory15LoadWithoutCastENSD_16StoreWithoutCastEEEviT_T0_T2_T3_T4_T5_.num_agpr, max(0, .L_ZN2at6native25elementwise_kernel_helperILb0EZZZNS0_12_GLOBAL__N_121bessel_y0_kernel_cudaERNS_18TensorIteratorBaseEENKUlvE_clEvENKUlvE_clEvEUldE_NS0_6memory8policies11unroll_baseILi256ESt5arrayIPcLm2EE23TrivialOffsetCalculatorILi1EjESF_NS8_15LoadWithoutCastENS8_16StoreWithoutCastELi4ELi1EEEEEvT0_T1_.num_agpr)
	.set _ZN2at6native27unrolled_elementwise_kernelIZZZNS0_12_GLOBAL__N_121bessel_y0_kernel_cudaERNS_18TensorIteratorBaseEENKUlvE_clEvENKUlvE_clEvEUldE_St5arrayIPcLm2EELi4E23TrivialOffsetCalculatorILi1EjESC_NS0_6memory15LoadWithoutCastENSD_16StoreWithoutCastEEEviT_T0_T2_T3_T4_T5_.numbered_sgpr, max(33, .L_ZN2at6native25elementwise_kernel_helperILb0EZZZNS0_12_GLOBAL__N_121bessel_y0_kernel_cudaERNS_18TensorIteratorBaseEENKUlvE_clEvENKUlvE_clEvEUldE_NS0_6memory8policies11unroll_baseILi256ESt5arrayIPcLm2EE23TrivialOffsetCalculatorILi1EjESF_NS8_15LoadWithoutCastENS8_16StoreWithoutCastELi4ELi1EEEEEvT0_T1_.numbered_sgpr)
	.set _ZN2at6native27unrolled_elementwise_kernelIZZZNS0_12_GLOBAL__N_121bessel_y0_kernel_cudaERNS_18TensorIteratorBaseEENKUlvE_clEvENKUlvE_clEvEUldE_St5arrayIPcLm2EELi4E23TrivialOffsetCalculatorILi1EjESC_NS0_6memory15LoadWithoutCastENSD_16StoreWithoutCastEEEviT_T0_T2_T3_T4_T5_.num_named_barrier, max(0, .L_ZN2at6native25elementwise_kernel_helperILb0EZZZNS0_12_GLOBAL__N_121bessel_y0_kernel_cudaERNS_18TensorIteratorBaseEENKUlvE_clEvENKUlvE_clEvEUldE_NS0_6memory8policies11unroll_baseILi256ESt5arrayIPcLm2EE23TrivialOffsetCalculatorILi1EjESF_NS8_15LoadWithoutCastENS8_16StoreWithoutCastELi4ELi1EEEEEvT0_T1_.num_named_barrier)
	.set _ZN2at6native27unrolled_elementwise_kernelIZZZNS0_12_GLOBAL__N_121bessel_y0_kernel_cudaERNS_18TensorIteratorBaseEENKUlvE_clEvENKUlvE_clEvEUldE_St5arrayIPcLm2EELi4E23TrivialOffsetCalculatorILi1EjESC_NS0_6memory15LoadWithoutCastENSD_16StoreWithoutCastEEEviT_T0_T2_T3_T4_T5_.private_seg_size, 0+max(.L_ZN2at6native25elementwise_kernel_helperILb0EZZZNS0_12_GLOBAL__N_121bessel_y0_kernel_cudaERNS_18TensorIteratorBaseEENKUlvE_clEvENKUlvE_clEvEUldE_NS0_6memory8policies11unroll_baseILi256ESt5arrayIPcLm2EE23TrivialOffsetCalculatorILi1EjESF_NS8_15LoadWithoutCastENS8_16StoreWithoutCastELi4ELi1EEEEEvT0_T1_.private_seg_size)
	.set _ZN2at6native27unrolled_elementwise_kernelIZZZNS0_12_GLOBAL__N_121bessel_y0_kernel_cudaERNS_18TensorIteratorBaseEENKUlvE_clEvENKUlvE_clEvEUldE_St5arrayIPcLm2EELi4E23TrivialOffsetCalculatorILi1EjESC_NS0_6memory15LoadWithoutCastENSD_16StoreWithoutCastEEEviT_T0_T2_T3_T4_T5_.uses_vcc, or(1, .L_ZN2at6native25elementwise_kernel_helperILb0EZZZNS0_12_GLOBAL__N_121bessel_y0_kernel_cudaERNS_18TensorIteratorBaseEENKUlvE_clEvENKUlvE_clEvEUldE_NS0_6memory8policies11unroll_baseILi256ESt5arrayIPcLm2EE23TrivialOffsetCalculatorILi1EjESF_NS8_15LoadWithoutCastENS8_16StoreWithoutCastELi4ELi1EEEEEvT0_T1_.uses_vcc)
	.set _ZN2at6native27unrolled_elementwise_kernelIZZZNS0_12_GLOBAL__N_121bessel_y0_kernel_cudaERNS_18TensorIteratorBaseEENKUlvE_clEvENKUlvE_clEvEUldE_St5arrayIPcLm2EELi4E23TrivialOffsetCalculatorILi1EjESC_NS0_6memory15LoadWithoutCastENSD_16StoreWithoutCastEEEviT_T0_T2_T3_T4_T5_.uses_flat_scratch, or(0, .L_ZN2at6native25elementwise_kernel_helperILb0EZZZNS0_12_GLOBAL__N_121bessel_y0_kernel_cudaERNS_18TensorIteratorBaseEENKUlvE_clEvENKUlvE_clEvEUldE_NS0_6memory8policies11unroll_baseILi256ESt5arrayIPcLm2EE23TrivialOffsetCalculatorILi1EjESF_NS8_15LoadWithoutCastENS8_16StoreWithoutCastELi4ELi1EEEEEvT0_T1_.uses_flat_scratch)
	.set _ZN2at6native27unrolled_elementwise_kernelIZZZNS0_12_GLOBAL__N_121bessel_y0_kernel_cudaERNS_18TensorIteratorBaseEENKUlvE_clEvENKUlvE_clEvEUldE_St5arrayIPcLm2EELi4E23TrivialOffsetCalculatorILi1EjESC_NS0_6memory15LoadWithoutCastENSD_16StoreWithoutCastEEEviT_T0_T2_T3_T4_T5_.has_dyn_sized_stack, or(0, .L_ZN2at6native25elementwise_kernel_helperILb0EZZZNS0_12_GLOBAL__N_121bessel_y0_kernel_cudaERNS_18TensorIteratorBaseEENKUlvE_clEvENKUlvE_clEvEUldE_NS0_6memory8policies11unroll_baseILi256ESt5arrayIPcLm2EE23TrivialOffsetCalculatorILi1EjESF_NS8_15LoadWithoutCastENS8_16StoreWithoutCastELi4ELi1EEEEEvT0_T1_.has_dyn_sized_stack)
	.set _ZN2at6native27unrolled_elementwise_kernelIZZZNS0_12_GLOBAL__N_121bessel_y0_kernel_cudaERNS_18TensorIteratorBaseEENKUlvE_clEvENKUlvE_clEvEUldE_St5arrayIPcLm2EELi4E23TrivialOffsetCalculatorILi1EjESC_NS0_6memory15LoadWithoutCastENSD_16StoreWithoutCastEEEviT_T0_T2_T3_T4_T5_.has_recursion, or(0, .L_ZN2at6native25elementwise_kernel_helperILb0EZZZNS0_12_GLOBAL__N_121bessel_y0_kernel_cudaERNS_18TensorIteratorBaseEENKUlvE_clEvENKUlvE_clEvEUldE_NS0_6memory8policies11unroll_baseILi256ESt5arrayIPcLm2EE23TrivialOffsetCalculatorILi1EjESF_NS8_15LoadWithoutCastENS8_16StoreWithoutCastELi4ELi1EEEEEvT0_T1_.has_recursion)
	.set _ZN2at6native27unrolled_elementwise_kernelIZZZNS0_12_GLOBAL__N_121bessel_y0_kernel_cudaERNS_18TensorIteratorBaseEENKUlvE_clEvENKUlvE_clEvEUldE_St5arrayIPcLm2EELi4E23TrivialOffsetCalculatorILi1EjESC_NS0_6memory15LoadWithoutCastENSD_16StoreWithoutCastEEEviT_T0_T2_T3_T4_T5_.has_indirect_call, or(0, .L_ZN2at6native25elementwise_kernel_helperILb0EZZZNS0_12_GLOBAL__N_121bessel_y0_kernel_cudaERNS_18TensorIteratorBaseEENKUlvE_clEvENKUlvE_clEvEUldE_NS0_6memory8policies11unroll_baseILi256ESt5arrayIPcLm2EE23TrivialOffsetCalculatorILi1EjESF_NS8_15LoadWithoutCastENS8_16StoreWithoutCastELi4ELi1EEEEEvT0_T1_.has_indirect_call)
	.section	.AMDGPU.csdata,"",@progbits
; Kernel info:
; codeLenInByte = 96
; TotalNumSgprs: 52
; NumVgprs: 82
; ScratchSize: 0
; MemoryBound: 0
; FloatMode: 240
; IeeeMode: 1
; LDSByteSize: 0 bytes/workgroup (compile time only)
; SGPRBlocks: 6
; VGPRBlocks: 20
; NumSGPRsForWavesPerEU: 52
; NumVGPRsForWavesPerEU: 82
; Occupancy: 3
; WaveLimiterHint : 0
; COMPUTE_PGM_RSRC2:SCRATCH_EN: 0
; COMPUTE_PGM_RSRC2:USER_SGPR: 6
; COMPUTE_PGM_RSRC2:TRAP_HANDLER: 0
; COMPUTE_PGM_RSRC2:TGID_X_EN: 1
; COMPUTE_PGM_RSRC2:TGID_Y_EN: 0
; COMPUTE_PGM_RSRC2:TGID_Z_EN: 0
; COMPUTE_PGM_RSRC2:TIDIG_COMP_CNT: 0
	.section	.text._ZN2at6native32elementwise_kernel_manual_unrollILi128ELi4EZNS0_22gpu_kernel_impl_nocastIZZZNS0_12_GLOBAL__N_121bessel_y0_kernel_cudaERNS_18TensorIteratorBaseEENKUlvE_clEvENKUlvE_clEvEUldE_EEvS5_RKT_EUlibE_EEviT1_,"axG",@progbits,_ZN2at6native32elementwise_kernel_manual_unrollILi128ELi4EZNS0_22gpu_kernel_impl_nocastIZZZNS0_12_GLOBAL__N_121bessel_y0_kernel_cudaERNS_18TensorIteratorBaseEENKUlvE_clEvENKUlvE_clEvEUldE_EEvS5_RKT_EUlibE_EEviT1_,comdat
	.globl	_ZN2at6native32elementwise_kernel_manual_unrollILi128ELi4EZNS0_22gpu_kernel_impl_nocastIZZZNS0_12_GLOBAL__N_121bessel_y0_kernel_cudaERNS_18TensorIteratorBaseEENKUlvE_clEvENKUlvE_clEvEUldE_EEvS5_RKT_EUlibE_EEviT1_ ; -- Begin function _ZN2at6native32elementwise_kernel_manual_unrollILi128ELi4EZNS0_22gpu_kernel_impl_nocastIZZZNS0_12_GLOBAL__N_121bessel_y0_kernel_cudaERNS_18TensorIteratorBaseEENKUlvE_clEvENKUlvE_clEvEUldE_EEvS5_RKT_EUlibE_EEviT1_
	.p2align	8
	.type	_ZN2at6native32elementwise_kernel_manual_unrollILi128ELi4EZNS0_22gpu_kernel_impl_nocastIZZZNS0_12_GLOBAL__N_121bessel_y0_kernel_cudaERNS_18TensorIteratorBaseEENKUlvE_clEvENKUlvE_clEvEUldE_EEvS5_RKT_EUlibE_EEviT1_,@function
_ZN2at6native32elementwise_kernel_manual_unrollILi128ELi4EZNS0_22gpu_kernel_impl_nocastIZZZNS0_12_GLOBAL__N_121bessel_y0_kernel_cudaERNS_18TensorIteratorBaseEENKUlvE_clEvENKUlvE_clEvEUldE_EEvS5_RKT_EUlibE_EEviT1_: ; @_ZN2at6native32elementwise_kernel_manual_unrollILi128ELi4EZNS0_22gpu_kernel_impl_nocastIZZZNS0_12_GLOBAL__N_121bessel_y0_kernel_cudaERNS_18TensorIteratorBaseEENKUlvE_clEvENKUlvE_clEvEUldE_EEvS5_RKT_EUlibE_EEviT1_
; %bb.0:
	s_load_dword s55, s[4:5], 0x0
	s_load_dword s33, s[4:5], 0x8
	s_add_u32 s34, s4, 8
	s_addc_u32 s35, s5, 0
	v_lshl_or_b32 v27, s6, 9, v0
	v_or_b32_e32 v12, 0x180, v27
	s_waitcnt lgkmcnt(0)
	s_add_i32 s54, s33, -1
	s_cmp_gt_u32 s54, 1
	v_cmp_le_i32_e32 vcc, s55, v12
	s_cselect_b64 s[36:37], -1, 0
	s_and_saveexec_b64 s[0:1], vcc
	s_xor_b64 s[38:39], exec, s[0:1]
	s_cbranch_execz .LBB7_7
; %bb.1:
	s_load_dwordx4 s[24:27], s[34:35], 0x4
	s_load_dwordx2 s[40:41], s[34:35], 0x14
	s_load_dwordx4 s[20:23], s[34:35], 0xc4
	s_load_dwordx4 s[16:19], s[34:35], 0x148
	s_cmp_lg_u32 s33, 0
	s_cselect_b64 s[46:47], -1, 0
	s_add_u32 s44, s34, 0xc4
	s_addc_u32 s45, s35, 0
	s_min_u32 s56, s54, 15
	s_cmp_gt_u32 s33, 1
	s_cselect_b64 s[42:43], -1, 0
	v_cmp_gt_i32_e32 vcc, s55, v27
	s_and_saveexec_b64 s[48:49], vcc
	s_cbranch_execz .LBB7_14
; %bb.2:
	s_andn2_b64 vcc, exec, s[36:37]
	s_cbranch_vccnz .LBB7_21
; %bb.3:
	s_andn2_b64 vcc, exec, s[46:47]
	s_cbranch_vccnz .LBB7_153
; %bb.4:
	s_add_i32 s58, s56, 1
	s_cmp_eq_u32 s54, 2
	s_cbranch_scc1 .LBB7_155
; %bb.5:
	s_and_b32 s57, s58, 28
	v_mov_b32_e32 v2, 0
	s_mov_b32 s59, 0
	s_mov_b64 s[50:51], s[34:35]
	s_mov_b64 s[52:53], s[44:45]
	v_mov_b32_e32 v0, 0
	v_mov_b32_e32 v1, v27
.LBB7_6:                                ; =>This Inner Loop Header: Depth=1
	s_load_dwordx8 s[8:15], s[50:51], 0x4
	s_load_dwordx4 s[28:31], s[50:51], 0x24
	s_load_dwordx8 s[0:7], s[52:53], 0x0
	s_add_u32 s50, s50, 48
	s_addc_u32 s51, s51, 0
	s_waitcnt lgkmcnt(0)
	v_mul_hi_u32 v3, s9, v1
	s_add_i32 s59, s59, 4
	s_add_u32 s52, s52, 32
	s_addc_u32 s53, s53, 0
	v_add_u32_e32 v3, v1, v3
	v_lshrrev_b32_e32 v3, s10, v3
	v_mul_lo_u32 v4, v3, s8
	v_mul_hi_u32 v5, s12, v3
	s_cmp_lg_u32 s57, s59
	v_sub_u32_e32 v1, v1, v4
	v_add_u32_e32 v4, v3, v5
	v_mul_lo_u32 v5, v1, s0
	v_mul_lo_u32 v6, v1, s1
	v_lshrrev_b32_e32 v1, s13, v4
	v_mul_lo_u32 v4, v1, s11
	v_mul_hi_u32 v7, s15, v1
	v_sub_u32_e32 v3, v3, v4
	v_add_u32_e32 v4, v1, v7
	v_lshrrev_b32_e32 v4, s28, v4
	v_mul_hi_u32 v8, s30, v4
	v_mul_lo_u32 v9, v4, s14
	v_mul_lo_u32 v7, v3, s2
	;; [unrolled: 1-line block ×3, first 2 shown]
	v_sub_u32_e32 v9, v1, v9
	v_add_u32_e32 v1, v4, v8
	v_lshrrev_b32_e32 v1, s31, v1
	v_mul_lo_u32 v8, v1, s29
	v_mul_lo_u32 v10, v9, s4
	;; [unrolled: 1-line block ×3, first 2 shown]
	v_add3_u32 v0, v5, v0, v7
	v_sub_u32_e32 v4, v4, v8
	v_mul_lo_u32 v8, v4, s6
	v_mul_lo_u32 v4, v4, s7
	v_add3_u32 v2, v6, v2, v3
	v_add3_u32 v0, v10, v0, v8
	;; [unrolled: 1-line block ×3, first 2 shown]
	s_cbranch_scc1 .LBB7_6
	s_branch .LBB7_156
.LBB7_7:
	s_andn2_saveexec_b64 s[0:1], s[38:39]
	s_cbranch_execz .LBB7_221
.LBB7_8:
	v_cndmask_b32_e64 v0, 0, 1, s[36:37]
	v_cmp_ne_u32_e64 s[0:1], 1, v0
	s_andn2_b64 vcc, exec, s[36:37]
	s_cbranch_vccnz .LBB7_20
; %bb.9:
	s_cmp_lg_u32 s33, 0
	s_waitcnt lgkmcnt(0)
	s_mov_b32 s26, 0
	s_cbranch_scc0 .LBB7_23
; %bb.10:
	s_min_u32 s27, s54, 15
	s_add_i32 s27, s27, 1
	s_cmp_eq_u32 s54, 2
	s_cbranch_scc1 .LBB7_24
; %bb.11:
	s_and_b32 s26, s27, 28
	s_add_u32 s2, s34, 0xc4
	s_addc_u32 s3, s35, 0
	v_mov_b32_e32 v7, 0
	s_mov_b32 s28, 0
	s_mov_b64 s[24:25], s[34:35]
	v_mov_b32_e32 v0, 0
	v_mov_b32_e32 v1, v27
.LBB7_12:                               ; =>This Inner Loop Header: Depth=1
	s_load_dwordx8 s[12:19], s[24:25], 0x4
	s_load_dwordx4 s[20:23], s[24:25], 0x24
	s_load_dwordx8 s[4:11], s[2:3], 0x0
	s_add_u32 s24, s24, 48
	s_addc_u32 s25, s25, 0
	s_waitcnt lgkmcnt(0)
	v_mul_hi_u32 v2, s13, v1
	s_add_i32 s28, s28, 4
	s_add_u32 s2, s2, 32
	s_addc_u32 s3, s3, 0
	v_add_u32_e32 v2, v1, v2
	v_lshrrev_b32_e32 v2, s14, v2
	v_mul_lo_u32 v3, v2, s12
	v_mul_hi_u32 v4, s16, v2
	s_cmp_lg_u32 s26, s28
	v_sub_u32_e32 v1, v1, v3
	v_add_u32_e32 v3, v2, v4
	v_mul_lo_u32 v4, v1, s4
	v_mul_lo_u32 v5, v1, s5
	v_lshrrev_b32_e32 v1, s17, v3
	v_mul_lo_u32 v3, v1, s15
	v_mul_hi_u32 v6, s19, v1
	v_sub_u32_e32 v2, v2, v3
	v_add_u32_e32 v3, v1, v6
	v_lshrrev_b32_e32 v3, s20, v3
	v_mul_hi_u32 v8, s22, v3
	v_mul_lo_u32 v9, v3, s18
	v_mul_lo_u32 v6, v2, s6
	;; [unrolled: 1-line block ×3, first 2 shown]
	v_sub_u32_e32 v9, v1, v9
	v_add_u32_e32 v1, v3, v8
	v_lshrrev_b32_e32 v1, s23, v1
	v_mul_lo_u32 v8, v1, s21
	v_mul_lo_u32 v10, v9, s8
	;; [unrolled: 1-line block ×3, first 2 shown]
	v_add3_u32 v0, v4, v0, v6
	v_sub_u32_e32 v3, v3, v8
	v_mul_lo_u32 v8, v3, s10
	v_mul_lo_u32 v3, v3, s11
	v_add3_u32 v2, v5, v7, v2
	v_add3_u32 v0, v10, v0, v8
	;; [unrolled: 1-line block ×3, first 2 shown]
	s_cbranch_scc1 .LBB7_12
; %bb.13:
	s_and_b32 s6, s27, 3
	s_cmp_eq_u32 s6, 0
	s_cbranch_scc0 .LBB7_25
	s_branch .LBB7_27
.LBB7_14:
	s_or_b64 exec, exec, s[48:49]
	v_cmp_gt_i32_e32 vcc, s55, v27
	s_and_saveexec_b64 s[48:49], vcc
	s_cbranch_execz .LBB7_183
.LBB7_15:
	s_andn2_b64 vcc, exec, s[36:37]
	s_cbranch_vccnz .LBB7_22
; %bb.16:
	s_andn2_b64 vcc, exec, s[46:47]
	s_cbranch_vccnz .LBB7_154
; %bb.17:
	s_add_i32 s58, s56, 1
	s_cmp_eq_u32 s54, 2
	s_cbranch_scc1 .LBB7_191
; %bb.18:
	s_and_b32 s57, s58, 28
	v_mov_b32_e32 v2, 0
	s_mov_b32 s59, 0
	s_mov_b64 s[50:51], s[34:35]
	s_mov_b64 s[52:53], s[44:45]
	v_mov_b32_e32 v0, 0
	v_mov_b32_e32 v1, v27
.LBB7_19:                               ; =>This Inner Loop Header: Depth=1
	s_load_dwordx8 s[8:15], s[50:51], 0x4
	s_load_dwordx4 s[28:31], s[50:51], 0x24
	s_load_dwordx8 s[0:7], s[52:53], 0x0
	s_add_u32 s50, s50, 48
	s_addc_u32 s51, s51, 0
	s_waitcnt lgkmcnt(0)
	v_mul_hi_u32 v3, s9, v1
	s_add_i32 s59, s59, 4
	s_add_u32 s52, s52, 32
	s_addc_u32 s53, s53, 0
	v_add_u32_e32 v3, v1, v3
	v_lshrrev_b32_e32 v3, s10, v3
	v_mul_lo_u32 v4, v3, s8
	v_mul_hi_u32 v5, s12, v3
	s_cmp_eq_u32 s57, s59
	v_sub_u32_e32 v1, v1, v4
	v_add_u32_e32 v4, v3, v5
	v_mul_lo_u32 v5, v1, s0
	v_mul_lo_u32 v6, v1, s1
	v_lshrrev_b32_e32 v1, s13, v4
	v_mul_lo_u32 v4, v1, s11
	v_mul_hi_u32 v7, s15, v1
	v_sub_u32_e32 v3, v3, v4
	v_add_u32_e32 v4, v1, v7
	v_lshrrev_b32_e32 v4, s28, v4
	v_mul_hi_u32 v8, s30, v4
	v_mul_lo_u32 v9, v4, s14
	v_mul_lo_u32 v7, v3, s2
	;; [unrolled: 1-line block ×3, first 2 shown]
	v_sub_u32_e32 v9, v1, v9
	v_add_u32_e32 v1, v4, v8
	v_lshrrev_b32_e32 v1, s31, v1
	v_mul_lo_u32 v8, v1, s29
	v_mul_lo_u32 v10, v9, s4
	;; [unrolled: 1-line block ×3, first 2 shown]
	v_add3_u32 v0, v5, v0, v7
	v_sub_u32_e32 v4, v4, v8
	v_mul_lo_u32 v8, v4, s6
	v_mul_lo_u32 v4, v4, s7
	v_add3_u32 v2, v6, v2, v3
	v_add3_u32 v0, v10, v0, v8
	;; [unrolled: 1-line block ×3, first 2 shown]
	s_cbranch_scc0 .LBB7_19
	s_branch .LBB7_192
.LBB7_20:
                                        ; implicit-def: $vgpr0
                                        ; implicit-def: $vgpr7
	s_branch .LBB7_28
.LBB7_21:
                                        ; implicit-def: $vgpr0
                                        ; implicit-def: $vgpr2
	s_branch .LBB7_160
.LBB7_22:
                                        ; implicit-def: $vgpr0
                                        ; implicit-def: $vgpr2
	s_branch .LBB7_196
.LBB7_23:
	v_mov_b32_e32 v0, 0
	v_mov_b32_e32 v7, 0
	s_branch .LBB7_27
.LBB7_24:
	v_mov_b32_e32 v0, 0
	v_mov_b32_e32 v7, 0
	;; [unrolled: 1-line block ×3, first 2 shown]
	s_and_b32 s6, s27, 3
	s_cmp_eq_u32 s6, 0
	s_cbranch_scc1 .LBB7_27
.LBB7_25:
	s_lshl_b32 s2, s26, 3
	s_add_u32 s2, s34, s2
	s_addc_u32 s3, s35, 0
	s_add_u32 s2, s2, 0xc4
	s_addc_u32 s3, s3, 0
	s_mul_i32 s4, s26, 12
	s_add_u32 s4, s34, s4
	s_addc_u32 s5, s35, 0
.LBB7_26:                               ; =>This Inner Loop Header: Depth=1
	s_load_dwordx2 s[8:9], s[4:5], 0x4
	s_load_dword s7, s[4:5], 0xc
	s_load_dwordx2 s[10:11], s[2:3], 0x0
	s_add_u32 s4, s4, 12
	s_addc_u32 s5, s5, 0
	s_waitcnt lgkmcnt(0)
	v_mul_hi_u32 v2, s9, v1
	s_add_u32 s2, s2, 8
	s_addc_u32 s3, s3, 0
	s_add_i32 s6, s6, -1
	v_add_u32_e32 v2, v1, v2
	v_lshrrev_b32_e32 v2, s7, v2
	v_mul_lo_u32 v3, v2, s8
	s_cmp_lg_u32 s6, 0
	v_sub_u32_e32 v3, v1, v3
	v_mad_u64_u32 v[0:1], s[8:9], v3, s10, v[0:1]
	v_mad_u64_u32 v[7:8], s[8:9], v3, s11, v[7:8]
	v_mov_b32_e32 v1, v2
	s_cbranch_scc1 .LBB7_26
.LBB7_27:
	s_cbranch_execnz .LBB7_30
.LBB7_28:
	s_load_dwordx4 s[4:7], s[34:35], 0x4
	s_load_dwordx2 s[2:3], s[34:35], 0xc4
	s_cmp_lt_u32 s33, 2
	s_waitcnt lgkmcnt(0)
	v_mul_hi_u32 v0, s5, v27
	v_add_u32_e32 v0, v27, v0
	v_lshrrev_b32_e32 v1, s6, v0
	v_mul_lo_u32 v0, v1, s4
	v_sub_u32_e32 v2, v27, v0
	v_mul_lo_u32 v0, v2, s2
	v_mul_lo_u32 v7, v2, s3
	s_cbranch_scc1 .LBB7_30
; %bb.29:
	s_load_dwordx4 s[4:7], s[34:35], 0x10
	s_load_dwordx2 s[2:3], s[34:35], 0xcc
	s_waitcnt lgkmcnt(0)
	v_mul_hi_u32 v2, s5, v1
	v_add_u32_e32 v2, v1, v2
	v_lshrrev_b32_e32 v2, s6, v2
	v_mul_lo_u32 v2, v2, s4
	v_sub_u32_e32 v2, v1, v2
	v_mad_u64_u32 v[0:1], s[4:5], v2, s2, v[0:1]
	v_mad_u64_u32 v[7:8], s[2:3], v2, s3, v[7:8]
.LBB7_30:
	s_and_b64 vcc, exec, s[0:1]
	v_add_u32_e32 v3, 0x80, v27
	s_cbranch_vccnz .LBB7_36
; %bb.31:
	s_cmp_lg_u32 s33, 0
	s_waitcnt lgkmcnt(0)
	s_mov_b32 s26, 0
	s_cbranch_scc0 .LBB7_37
; %bb.32:
	s_min_u32 s27, s54, 15
	s_add_i32 s27, s27, 1
	s_cmp_eq_u32 s54, 2
	s_cbranch_scc1 .LBB7_38
; %bb.33:
	s_and_b32 s26, s27, 28
	s_add_u32 s2, s34, 0xc4
	s_addc_u32 s3, s35, 0
	v_mov_b32_e32 v10, 0
	s_mov_b32 s28, 0
	s_mov_b64 s[24:25], s[34:35]
	v_mov_b32_e32 v1, 0
	v_mov_b32_e32 v2, v3
.LBB7_34:                               ; =>This Inner Loop Header: Depth=1
	s_load_dwordx8 s[12:19], s[24:25], 0x4
	s_load_dwordx4 s[20:23], s[24:25], 0x24
	s_load_dwordx8 s[4:11], s[2:3], 0x0
	s_add_u32 s24, s24, 48
	s_addc_u32 s25, s25, 0
	s_waitcnt lgkmcnt(0)
	v_mul_hi_u32 v4, s13, v2
	s_add_i32 s28, s28, 4
	s_add_u32 s2, s2, 32
	s_addc_u32 s3, s3, 0
	v_add_u32_e32 v4, v2, v4
	v_lshrrev_b32_e32 v4, s14, v4
	v_mul_lo_u32 v5, v4, s12
	v_mul_hi_u32 v6, s16, v4
	s_cmp_lg_u32 s26, s28
	v_sub_u32_e32 v2, v2, v5
	v_add_u32_e32 v5, v4, v6
	v_mul_lo_u32 v6, v2, s4
	v_mul_lo_u32 v8, v2, s5
	v_lshrrev_b32_e32 v2, s17, v5
	v_mul_lo_u32 v5, v2, s15
	v_mul_hi_u32 v9, s19, v2
	v_sub_u32_e32 v4, v4, v5
	v_add_u32_e32 v5, v2, v9
	v_lshrrev_b32_e32 v5, s20, v5
	v_mul_hi_u32 v11, s22, v5
	v_mul_lo_u32 v13, v5, s18
	v_mul_lo_u32 v9, v4, s6
	v_mul_lo_u32 v4, v4, s7
	v_sub_u32_e32 v13, v2, v13
	v_add_u32_e32 v2, v5, v11
	v_lshrrev_b32_e32 v2, s23, v2
	v_mul_lo_u32 v11, v2, s21
	v_mul_lo_u32 v14, v13, s8
	;; [unrolled: 1-line block ×3, first 2 shown]
	v_add3_u32 v1, v6, v1, v9
	v_sub_u32_e32 v5, v5, v11
	v_mul_lo_u32 v11, v5, s10
	v_mul_lo_u32 v5, v5, s11
	v_add3_u32 v4, v8, v10, v4
	v_add3_u32 v1, v14, v1, v11
	;; [unrolled: 1-line block ×3, first 2 shown]
	s_cbranch_scc1 .LBB7_34
; %bb.35:
	s_and_b32 s6, s27, 3
	s_cmp_eq_u32 s6, 0
	s_cbranch_scc0 .LBB7_39
	s_branch .LBB7_41
.LBB7_36:
                                        ; implicit-def: $vgpr1
                                        ; implicit-def: $vgpr10
	s_branch .LBB7_42
.LBB7_37:
	v_mov_b32_e32 v1, 0
	v_mov_b32_e32 v10, 0
	s_branch .LBB7_41
.LBB7_38:
	v_mov_b32_e32 v1, 0
	v_mov_b32_e32 v10, 0
	;; [unrolled: 1-line block ×3, first 2 shown]
	s_and_b32 s6, s27, 3
	s_cmp_eq_u32 s6, 0
	s_cbranch_scc1 .LBB7_41
.LBB7_39:
	s_lshl_b32 s2, s26, 3
	s_add_u32 s2, s34, s2
	s_addc_u32 s3, s35, 0
	s_add_u32 s2, s2, 0xc4
	s_addc_u32 s3, s3, 0
	s_mul_i32 s4, s26, 12
	s_add_u32 s4, s34, s4
	s_addc_u32 s5, s35, 0
.LBB7_40:                               ; =>This Inner Loop Header: Depth=1
	s_load_dwordx2 s[8:9], s[4:5], 0x4
	s_load_dword s7, s[4:5], 0xc
	s_load_dwordx2 s[10:11], s[2:3], 0x0
	s_add_u32 s4, s4, 12
	s_addc_u32 s5, s5, 0
	s_waitcnt lgkmcnt(0)
	v_mul_hi_u32 v4, s9, v2
	s_add_u32 s2, s2, 8
	s_addc_u32 s3, s3, 0
	s_add_i32 s6, s6, -1
	v_add_u32_e32 v4, v2, v4
	v_lshrrev_b32_e32 v4, s7, v4
	v_mul_lo_u32 v5, v4, s8
	s_cmp_lg_u32 s6, 0
	v_sub_u32_e32 v5, v2, v5
	v_mad_u64_u32 v[1:2], s[8:9], v5, s10, v[1:2]
	v_mad_u64_u32 v[10:11], s[8:9], v5, s11, v[10:11]
	v_mov_b32_e32 v2, v4
	s_cbranch_scc1 .LBB7_40
.LBB7_41:
	s_cbranch_execnz .LBB7_44
.LBB7_42:
	s_load_dwordx4 s[4:7], s[34:35], 0x4
	s_load_dwordx2 s[2:3], s[34:35], 0xc4
	s_cmp_lt_u32 s33, 2
	s_waitcnt lgkmcnt(0)
	v_mul_hi_u32 v1, s5, v3
	v_add_u32_e32 v1, v3, v1
	v_lshrrev_b32_e32 v2, s6, v1
	v_mul_lo_u32 v1, v2, s4
	v_sub_u32_e32 v3, v3, v1
	v_mul_lo_u32 v1, v3, s2
	v_mul_lo_u32 v10, v3, s3
	s_cbranch_scc1 .LBB7_44
; %bb.43:
	s_load_dwordx4 s[4:7], s[34:35], 0x10
	s_load_dwordx2 s[2:3], s[34:35], 0xcc
	s_waitcnt lgkmcnt(0)
	v_mul_hi_u32 v3, s5, v2
	v_add_u32_e32 v3, v2, v3
	v_lshrrev_b32_e32 v3, s6, v3
	v_mul_lo_u32 v3, v3, s4
	v_sub_u32_e32 v3, v2, v3
	v_mad_u64_u32 v[1:2], s[4:5], v3, s2, v[1:2]
	v_mad_u64_u32 v[10:11], s[2:3], v3, s3, v[10:11]
.LBB7_44:
	s_and_b64 vcc, exec, s[0:1]
	v_add_u32_e32 v4, 0x100, v27
	s_cbranch_vccnz .LBB7_50
; %bb.45:
	s_cmp_lg_u32 s33, 0
	s_waitcnt lgkmcnt(0)
	s_mov_b32 s26, 0
	s_cbranch_scc0 .LBB7_51
; %bb.46:
	s_min_u32 s27, s54, 15
	s_add_i32 s27, s27, 1
	s_cmp_eq_u32 s54, 2
	s_cbranch_scc1 .LBB7_52
; %bb.47:
	s_and_b32 s26, s27, 28
	s_add_u32 s2, s34, 0xc4
	s_addc_u32 s3, s35, 0
	v_mov_b32_e32 v8, 0
	s_mov_b32 s28, 0
	s_mov_b64 s[24:25], s[34:35]
	v_mov_b32_e32 v2, 0
	v_mov_b32_e32 v3, v4
.LBB7_48:                               ; =>This Inner Loop Header: Depth=1
	s_load_dwordx8 s[12:19], s[24:25], 0x4
	s_load_dwordx4 s[20:23], s[24:25], 0x24
	s_load_dwordx8 s[4:11], s[2:3], 0x0
	s_add_u32 s24, s24, 48
	s_addc_u32 s25, s25, 0
	s_waitcnt lgkmcnt(0)
	v_mul_hi_u32 v5, s13, v3
	s_add_i32 s28, s28, 4
	s_add_u32 s2, s2, 32
	s_addc_u32 s3, s3, 0
	v_add_u32_e32 v5, v3, v5
	v_lshrrev_b32_e32 v5, s14, v5
	v_mul_lo_u32 v6, v5, s12
	v_mul_hi_u32 v9, s16, v5
	s_cmp_lg_u32 s26, s28
	v_sub_u32_e32 v3, v3, v6
	v_add_u32_e32 v6, v5, v9
	v_mul_lo_u32 v9, v3, s4
	v_mul_lo_u32 v11, v3, s5
	v_lshrrev_b32_e32 v3, s17, v6
	v_mul_lo_u32 v6, v3, s15
	v_mul_hi_u32 v13, s19, v3
	v_sub_u32_e32 v5, v5, v6
	v_add_u32_e32 v6, v3, v13
	v_lshrrev_b32_e32 v6, s20, v6
	v_mul_hi_u32 v14, s22, v6
	v_mul_lo_u32 v15, v6, s18
	v_mul_lo_u32 v13, v5, s6
	;; [unrolled: 1-line block ×3, first 2 shown]
	v_sub_u32_e32 v15, v3, v15
	v_add_u32_e32 v3, v6, v14
	v_lshrrev_b32_e32 v3, s23, v3
	v_mul_lo_u32 v14, v3, s21
	v_mul_lo_u32 v16, v15, s8
	v_mul_lo_u32 v15, v15, s9
	v_add3_u32 v2, v9, v2, v13
	v_sub_u32_e32 v6, v6, v14
	v_mul_lo_u32 v14, v6, s10
	v_mul_lo_u32 v6, v6, s11
	v_add3_u32 v5, v11, v8, v5
	v_add3_u32 v2, v16, v2, v14
	;; [unrolled: 1-line block ×3, first 2 shown]
	s_cbranch_scc1 .LBB7_48
; %bb.49:
	s_and_b32 s6, s27, 3
	s_cmp_eq_u32 s6, 0
	s_cbranch_scc0 .LBB7_53
	s_branch .LBB7_55
.LBB7_50:
                                        ; implicit-def: $vgpr2
                                        ; implicit-def: $vgpr8
	s_branch .LBB7_56
.LBB7_51:
	v_mov_b32_e32 v2, 0
	v_mov_b32_e32 v8, 0
	s_branch .LBB7_55
.LBB7_52:
	v_mov_b32_e32 v2, 0
	v_mov_b32_e32 v8, 0
	;; [unrolled: 1-line block ×3, first 2 shown]
	s_and_b32 s6, s27, 3
	s_cmp_eq_u32 s6, 0
	s_cbranch_scc1 .LBB7_55
.LBB7_53:
	s_lshl_b32 s2, s26, 3
	s_add_u32 s2, s34, s2
	s_addc_u32 s3, s35, 0
	s_add_u32 s2, s2, 0xc4
	s_addc_u32 s3, s3, 0
	s_mul_i32 s4, s26, 12
	s_add_u32 s4, s34, s4
	s_addc_u32 s5, s35, 0
.LBB7_54:                               ; =>This Inner Loop Header: Depth=1
	s_load_dwordx2 s[8:9], s[4:5], 0x4
	s_load_dword s7, s[4:5], 0xc
	s_load_dwordx2 s[10:11], s[2:3], 0x0
	s_add_u32 s4, s4, 12
	s_addc_u32 s5, s5, 0
	s_waitcnt lgkmcnt(0)
	v_mul_hi_u32 v5, s9, v3
	s_add_u32 s2, s2, 8
	s_addc_u32 s3, s3, 0
	s_add_i32 s6, s6, -1
	v_add_u32_e32 v5, v3, v5
	v_lshrrev_b32_e32 v5, s7, v5
	v_mul_lo_u32 v6, v5, s8
	s_cmp_lg_u32 s6, 0
	v_sub_u32_e32 v6, v3, v6
	v_mad_u64_u32 v[2:3], s[8:9], v6, s10, v[2:3]
	v_mad_u64_u32 v[8:9], s[8:9], v6, s11, v[8:9]
	v_mov_b32_e32 v3, v5
	s_cbranch_scc1 .LBB7_54
.LBB7_55:
	s_cbranch_execnz .LBB7_58
.LBB7_56:
	s_load_dwordx4 s[4:7], s[34:35], 0x4
	s_load_dwordx2 s[2:3], s[34:35], 0xc4
	s_cmp_lt_u32 s33, 2
	s_waitcnt lgkmcnt(0)
	v_mul_hi_u32 v2, s5, v4
	v_add_u32_e32 v2, v4, v2
	v_lshrrev_b32_e32 v3, s6, v2
	v_mul_lo_u32 v2, v3, s4
	v_sub_u32_e32 v4, v4, v2
	v_mul_lo_u32 v2, v4, s2
	v_mul_lo_u32 v8, v4, s3
	s_cbranch_scc1 .LBB7_58
; %bb.57:
	s_load_dwordx4 s[4:7], s[34:35], 0x10
	s_load_dwordx2 s[2:3], s[34:35], 0xcc
	s_waitcnt lgkmcnt(0)
	v_mul_hi_u32 v4, s5, v3
	v_add_u32_e32 v4, v3, v4
	v_lshrrev_b32_e32 v4, s6, v4
	v_mul_lo_u32 v4, v4, s4
	v_sub_u32_e32 v4, v3, v4
	v_mad_u64_u32 v[2:3], s[4:5], v4, s2, v[2:3]
	v_mad_u64_u32 v[8:9], s[2:3], v4, s3, v[8:9]
.LBB7_58:
	s_and_b64 vcc, exec, s[0:1]
	s_cbranch_vccnz .LBB7_64
; %bb.59:
	s_cmp_lg_u32 s33, 0
	s_waitcnt lgkmcnt(0)
	s_mov_b32 s24, 0
	s_cbranch_scc0 .LBB7_65
; %bb.60:
	s_min_u32 s25, s54, 15
	s_add_i32 s25, s25, 1
	s_cmp_eq_u32 s54, 2
	s_cbranch_scc1 .LBB7_66
; %bb.61:
	s_and_b32 s24, s25, 28
	s_add_u32 s20, s34, 0xc4
	s_addc_u32 s21, s35, 0
	v_mov_b32_e32 v5, 0
	s_mov_b32 s26, 0
	s_mov_b64 s[22:23], s[34:35]
	v_mov_b32_e32 v3, 0
	v_mov_b32_e32 v4, v12
.LBB7_62:                               ; =>This Inner Loop Header: Depth=1
	s_load_dwordx8 s[8:15], s[22:23], 0x4
	s_load_dwordx4 s[16:19], s[22:23], 0x24
	s_load_dwordx8 s[0:7], s[20:21], 0x0
	s_add_u32 s22, s22, 48
	s_addc_u32 s23, s23, 0
	s_waitcnt lgkmcnt(0)
	v_mul_hi_u32 v6, s9, v4
	s_add_i32 s26, s26, 4
	s_add_u32 s20, s20, 32
	s_addc_u32 s21, s21, 0
	v_add_u32_e32 v6, v4, v6
	v_lshrrev_b32_e32 v6, s10, v6
	v_mul_lo_u32 v9, v6, s8
	v_mul_hi_u32 v11, s12, v6
	s_cmp_lg_u32 s24, s26
	v_sub_u32_e32 v4, v4, v9
	v_add_u32_e32 v9, v6, v11
	v_mul_lo_u32 v11, v4, s0
	v_mul_lo_u32 v13, v4, s1
	v_lshrrev_b32_e32 v4, s13, v9
	v_mul_lo_u32 v9, v4, s11
	v_mul_hi_u32 v14, s15, v4
	v_sub_u32_e32 v6, v6, v9
	v_add_u32_e32 v9, v4, v14
	v_lshrrev_b32_e32 v9, s16, v9
	v_mul_hi_u32 v15, s18, v9
	v_mul_lo_u32 v16, v9, s14
	v_mul_lo_u32 v14, v6, s2
	;; [unrolled: 1-line block ×3, first 2 shown]
	v_sub_u32_e32 v16, v4, v16
	v_add_u32_e32 v4, v9, v15
	v_lshrrev_b32_e32 v4, s19, v4
	v_mul_lo_u32 v15, v4, s17
	v_mul_lo_u32 v17, v16, s4
	;; [unrolled: 1-line block ×3, first 2 shown]
	v_add3_u32 v3, v11, v3, v14
	v_sub_u32_e32 v9, v9, v15
	v_mul_lo_u32 v15, v9, s6
	v_mul_lo_u32 v9, v9, s7
	v_add3_u32 v5, v13, v5, v6
	v_add3_u32 v3, v17, v3, v15
	;; [unrolled: 1-line block ×3, first 2 shown]
	s_cbranch_scc1 .LBB7_62
; %bb.63:
	s_and_b32 s4, s25, 3
	s_cmp_eq_u32 s4, 0
	s_cbranch_scc0 .LBB7_67
	s_branch .LBB7_69
.LBB7_64:
                                        ; implicit-def: $vgpr3
                                        ; implicit-def: $vgpr5
	s_branch .LBB7_70
.LBB7_65:
	v_mov_b32_e32 v3, 0
	v_mov_b32_e32 v5, 0
	s_branch .LBB7_69
.LBB7_66:
	v_mov_b32_e32 v3, 0
	v_mov_b32_e32 v5, 0
	;; [unrolled: 1-line block ×3, first 2 shown]
	s_and_b32 s4, s25, 3
	s_cmp_eq_u32 s4, 0
	s_cbranch_scc1 .LBB7_69
.LBB7_67:
	s_lshl_b32 s0, s24, 3
	s_add_u32 s0, s34, s0
	s_addc_u32 s1, s35, 0
	s_add_u32 s0, s0, 0xc4
	s_addc_u32 s1, s1, 0
	s_mul_i32 s2, s24, 12
	s_add_u32 s2, s34, s2
	s_addc_u32 s3, s35, 0
.LBB7_68:                               ; =>This Inner Loop Header: Depth=1
	s_load_dwordx2 s[6:7], s[2:3], 0x4
	s_load_dword s5, s[2:3], 0xc
	s_load_dwordx2 s[8:9], s[0:1], 0x0
	s_add_u32 s2, s2, 12
	s_addc_u32 s3, s3, 0
	s_waitcnt lgkmcnt(0)
	v_mul_hi_u32 v6, s7, v4
	s_add_u32 s0, s0, 8
	s_addc_u32 s1, s1, 0
	s_add_i32 s4, s4, -1
	v_add_u32_e32 v6, v4, v6
	v_lshrrev_b32_e32 v9, s5, v6
	v_mul_lo_u32 v6, v9, s6
	s_cmp_lg_u32 s4, 0
	v_sub_u32_e32 v6, v4, v6
	v_mad_u64_u32 v[3:4], s[6:7], v6, s8, v[3:4]
	v_mad_u64_u32 v[5:6], s[6:7], v6, s9, v[5:6]
	v_mov_b32_e32 v4, v9
	s_cbranch_scc1 .LBB7_68
.LBB7_69:
	s_cbranch_execnz .LBB7_72
.LBB7_70:
	s_load_dwordx4 s[0:3], s[34:35], 0x4
	s_load_dwordx2 s[4:5], s[34:35], 0xc4
	s_cmp_lt_u32 s33, 2
	s_waitcnt lgkmcnt(0)
	v_mul_hi_u32 v3, s1, v12
	v_add_u32_e32 v3, v12, v3
	v_lshrrev_b32_e32 v4, s2, v3
	v_mul_lo_u32 v3, v4, s0
	v_sub_u32_e32 v5, v12, v3
	v_mul_lo_u32 v3, v5, s4
	v_mul_lo_u32 v5, v5, s5
	s_cbranch_scc1 .LBB7_72
; %bb.71:
	s_load_dwordx4 s[0:3], s[34:35], 0x10
	s_load_dwordx2 s[4:5], s[34:35], 0xcc
	s_waitcnt lgkmcnt(0)
	v_mul_hi_u32 v6, s1, v4
	v_add_u32_e32 v6, v4, v6
	v_lshrrev_b32_e32 v6, s2, v6
	v_mul_lo_u32 v6, v6, s0
	v_sub_u32_e32 v6, v4, v6
	v_mad_u64_u32 v[3:4], s[0:1], v6, s4, v[3:4]
	v_mad_u64_u32 v[5:6], s[0:1], v6, s5, v[5:6]
.LBB7_72:
	s_load_dwordx4 s[4:7], s[34:35], 0x148
	s_mov_b32 s0, 0
	s_mov_b32 s1, 0x40140000
	s_waitcnt lgkmcnt(0)
	global_load_dwordx2 v[11:12], v7, s[6:7]
                                        ; implicit-def: $vgpr6_vgpr7
	s_waitcnt vmcnt(0)
	v_cmp_ge_f64_e32 vcc, s[0:1], v[11:12]
	s_and_saveexec_b64 s[0:1], vcc
	s_xor_b64 s[0:1], exec, s[0:1]
	s_cbranch_execz .LBB7_82
; %bb.73:
	v_cmp_neq_f64_e32 vcc, 0, v[11:12]
	v_mov_b32_e32 v6, 0
	v_mov_b32_e32 v7, 0xfff00000
	s_and_saveexec_b64 s[2:3], vcc
	s_cbranch_execz .LBB7_81
; %bb.74:
	v_cmp_ngt_f64_e32 vcc, 0, v[11:12]
	v_mov_b32_e32 v6, 0
	v_mov_b32_e32 v7, 0x7ff80000
	s_and_saveexec_b64 s[8:9], vcc
	s_cbranch_execz .LBB7_80
; %bb.75:
	v_mul_f64 v[6:7], v[11:12], v[11:12]
	s_mov_b32 s10, 0x88e368f1
	s_mov_b32 s11, 0x3ee4f8b5
	v_cmp_ngt_f64_e32 vcc, s[10:11], v[11:12]
                                        ; implicit-def: $vgpr13_vgpr14
	v_mul_f64 v[15:16], v[6:7], 0
	s_and_saveexec_b64 s[10:11], vcc
	s_xor_b64 s[10:11], exec, s[10:11]
	s_cbranch_execz .LBB7_77
; %bb.76:
	s_mov_b32 s12, 0xa696b78c
	s_mov_b32 s13, 0x407f3902
	v_add_f64 v[13:14], v[15:16], s[12:13]
	s_mov_b32 s12, 0x36a21a67
	s_mov_b32 s13, 0x410536cb
	;; [unrolled: 1-line block ×7, first 2 shown]
	v_fma_f64 v[13:14], v[6:7], v[13:14], s[12:13]
	s_mov_b32 s12, 0x2eac0634
	s_mov_b32 s13, 0x41871934
	;; [unrolled: 1-line block ×3, first 2 shown]
	v_fma_f64 v[13:14], v[6:7], v[13:14], s[12:13]
	s_mov_b32 s12, 0xad1c8325
	s_mov_b32 s13, 0xc1f1dc53
	v_add_f64 v[17:18], v[15:16], s[12:13]
	s_mov_b32 s12, 0xe0d900f7
	s_mov_b32 s13, 0xc2ec5614
	v_fma_f64 v[13:14], v[6:7], v[13:14], s[16:17]
	s_mov_b32 s16, 0x72182e46
	s_mov_b32 s17, 0x427ebeb3
	v_fma_f64 v[17:18], v[6:7], v[17:18], s[14:15]
	s_mov_b32 s14, 0x80462bbb
	s_mov_b32 s15, 0xc01721fb
	v_add_f64 v[19:20], v[6:7], s[14:15]
	s_mov_b32 s14, 0x69ff5fb4
	v_fma_f64 v[13:14], v[6:7], v[13:14], s[16:17]
	s_mov_b32 s16, 0xa621dd6f
	s_mov_b32 s17, 0xc03e78a4
	v_add_f64 v[21:22], v[6:7], s[16:17]
	v_fma_f64 v[17:18], v[6:7], v[17:18], s[12:13]
	s_mov_b32 s12, 0x7e7b2e9c
	s_mov_b32 s13, 0x435c4141
	;; [unrolled: 1-line block ×3, first 2 shown]
	v_fma_f64 v[13:14], v[6:7], v[13:14], s[18:19]
	v_mul_f64 v[19:20], v[19:20], v[21:22]
	v_fma_f64 v[17:18], v[6:7], v[17:18], s[14:15]
	v_fma_f64 v[13:14], v[6:7], v[13:14], s[12:13]
	s_mov_b32 s12, 0xc7b662cc
	s_mov_b32 s13, 0x43b7be34
	v_mul_f64 v[17:18], v[19:20], v[17:18]
	v_fma_f64 v[13:14], v[6:7], v[13:14], s[12:13]
	v_div_scale_f64 v[19:20], s[12:13], v[13:14], v[13:14], v[17:18]
	v_div_scale_f64 v[25:26], vcc, v[17:18], v[13:14], v[17:18]
	v_rcp_f64_e32 v[21:22], v[19:20]
	v_fma_f64 v[23:24], -v[19:20], v[21:22], 1.0
	v_fma_f64 v[21:22], v[21:22], v[23:24], v[21:22]
	v_fma_f64 v[23:24], -v[19:20], v[21:22], 1.0
	v_fma_f64 v[21:22], v[21:22], v[23:24], v[21:22]
	v_mul_f64 v[23:24], v[25:26], v[21:22]
	v_fma_f64 v[19:20], -v[19:20], v[23:24], v[25:26]
	v_div_fmas_f64 v[19:20], v[19:20], v[21:22], v[23:24]
	v_div_fixup_f64 v[13:14], v[19:20], v[13:14], v[17:18]
.LBB7_77:
	s_andn2_saveexec_b64 s[10:11], s[10:11]
	s_cbranch_execz .LBB7_79
; %bb.78:
	s_mov_b32 s12, 0
	s_mov_b32 s13, 0xbfd00000
	v_fma_f64 v[13:14], v[6:7], s[12:13], 1.0
.LBB7_79:
	s_or_b64 exec, exec, s[10:11]
	v_frexp_mant_f64_e32 v[17:18], v[11:12]
	s_mov_b32 s11, 0x3fe55555
	s_mov_b32 s10, 0x55555555
	;; [unrolled: 1-line block ×7, first 2 shown]
	v_cmp_gt_f64_e32 vcc, s[10:11], v[17:18]
	s_mov_b32 s17, 0x40ce7437
	s_mov_b32 s18, 0x32e48896
	;; [unrolled: 1-line block ×7, first 2 shown]
	v_cndmask_b32_e64 v4, 0, 1, vcc
	v_ldexp_f64 v[19:20], v[17:18], v4
	s_mov_b32 s10, 0x55555780
	s_mov_b32 s22, 0xe1d6bd2b
	;; [unrolled: 1-line block ×3, first 2 shown]
	v_frexp_exp_i32_f64_e32 v4, v[11:12]
	v_add_f64 v[21:22], v[19:20], 1.0
	v_add_f64 v[25:26], v[19:20], -1.0
	v_subbrev_co_u32_e32 v4, vcc, 0, v4, vcc
	v_rcp_f64_e32 v[17:18], v[21:22]
	v_add_f64 v[27:28], v[21:22], -1.0
	v_add_f64 v[19:20], v[19:20], -v[27:28]
	v_fma_f64 v[23:24], -v[21:22], v[17:18], 1.0
	v_fma_f64 v[17:18], v[23:24], v[17:18], v[17:18]
	v_fma_f64 v[23:24], -v[21:22], v[17:18], 1.0
	v_fma_f64 v[23:24], v[23:24], v[17:18], v[17:18]
	v_mul_f64 v[17:18], v[25:26], v[23:24]
	v_mul_f64 v[29:30], v[21:22], v[17:18]
	v_fma_f64 v[21:22], v[17:18], v[21:22], -v[29:30]
	v_fma_f64 v[19:20], v[17:18], v[19:20], v[21:22]
	v_add_f64 v[21:22], v[29:30], v[19:20]
	v_add_f64 v[27:28], v[25:26], -v[21:22]
	v_add_f64 v[29:30], v[21:22], -v[29:30]
	;; [unrolled: 1-line block ×5, first 2 shown]
	v_mov_b32_e32 v25, 0x6b47b09a
	v_mov_b32_e32 v26, 0x3fc38538
	v_add_f64 v[19:20], v[19:20], v[21:22]
	v_add_f64 v[19:20], v[27:28], v[19:20]
	;; [unrolled: 1-line block ×3, first 2 shown]
	s_mov_b32 s16, 0x9b27acf1
	s_mov_b32 s17, 0x3fd24924
	v_add_f64 v[15:16], v[15:16], s[24:25]
	v_mul_f64 v[19:20], v[23:24], v[19:20]
	v_fma_f64 v[27:28], v[6:7], v[27:28], s[18:19]
	s_mov_b32 s18, 0x998ef7b6
	s_mov_b32 s19, 0x3fd99999
	v_add_f64 v[21:22], v[17:18], v[19:20]
	v_fma_f64 v[27:28], v[6:7], v[27:28], s[20:21]
	v_mul_f64 v[23:24], v[21:22], v[21:22]
	v_add_f64 v[17:18], v[21:22], -v[17:18]
	v_fma_f64 v[25:26], v[23:24], s[12:13], v[25:26]
	s_mov_b32 s12, 0xd7f4df2e
	s_mov_b32 s13, 0x3fc7474d
	v_mul_f64 v[29:30], v[21:22], v[23:24]
	v_add_f64 v[17:18], v[19:20], -v[17:18]
	v_fma_f64 v[25:26], v[23:24], v[25:26], s[12:13]
	s_mov_b32 s12, 0x3cc3ac2d
	s_mov_b32 s13, 0x42d3ea72
	v_ldexp_f64 v[17:18], v[17:18], 1
	v_fma_f64 v[25:26], v[23:24], v[25:26], s[14:15]
	s_mov_b32 s14, 0xd1d8cc02
	s_mov_b32 s15, 0xc328a121
	v_fma_f64 v[25:26], v[23:24], v[25:26], s[16:17]
	s_mov_b32 s16, 0xa907bc0c
	s_mov_b32 s17, 0x41231b76
	;; [unrolled: 3-line block ×5, first 2 shown]
	v_fma_f64 v[23:24], v[23:24], v[25:26], s[10:11]
	v_fma_f64 v[25:26], v[6:7], v[27:28], s[22:23]
	v_ldexp_f64 v[27:28], v[21:22], 1
	s_mov_b32 s10, 0x2b8664bc
	s_mov_b32 s11, 0x42341ddb
	v_fma_f64 v[15:16], v[6:7], v[15:16], s[10:11]
	s_mov_b32 s10, 0xdfeb596d
	s_mov_b32 s11, 0x43268910
	v_mul_f64 v[23:24], v[29:30], v[23:24]
	v_fma_f64 v[11:12], v[6:7], v[25:26], s[12:13]
	v_cvt_f64_i32_e32 v[25:26], v4
	s_mov_b32 s12, 0xfefa39ef
	s_mov_b32 s13, 0x3fe62e42
	v_fma_f64 v[15:16], v[6:7], v[15:16], s[18:19]
	v_mul_f64 v[29:30], v[25:26], s[12:13]
	v_add_f64 v[21:22], v[27:28], v[23:24]
	v_fma_f64 v[11:12], v[6:7], v[11:12], s[14:15]
	s_mov_b32 s14, 0xbcf9b5d0
	s_mov_b32 s15, 0x438bd25f
	v_fma_f64 v[15:16], v[6:7], v[15:16], s[10:11]
	s_mov_b32 s10, 0x5906367b
	s_mov_b32 s11, 0xc3506d4b
	v_add_f64 v[19:20], v[21:22], -v[27:28]
	v_fma_f64 v[11:12], v[6:7], v[11:12], s[16:17]
	v_fma_f64 v[27:28], v[25:26], s[12:13], -v[29:30]
	v_fma_f64 v[15:16], v[6:7], v[15:16], s[14:15]
	v_add_f64 v[19:20], v[23:24], -v[19:20]
	v_fma_f64 v[6:7], v[6:7], v[11:12], s[10:11]
	s_mov_b32 s10, 0x3b39803f
	s_mov_b32 s11, 0x3c7abc9e
	v_fma_f64 v[11:12], v[25:26], s[10:11], v[27:28]
	v_add_f64 v[17:18], v[17:18], v[19:20]
	v_div_scale_f64 v[19:20], s[10:11], v[15:16], v[15:16], v[6:7]
	s_mov_b32 s10, 0x6dc9c883
	v_add_f64 v[23:24], v[29:30], v[11:12]
	s_mov_b32 s11, 0x3fe45f30
	v_add_f64 v[25:26], v[21:22], v[17:18]
	v_add_f64 v[29:30], v[23:24], -v[29:30]
	v_add_f64 v[27:28], v[23:24], v[25:26]
	v_rcp_f64_e32 v[31:32], v[19:20]
	v_add_f64 v[21:22], v[25:26], -v[21:22]
	v_add_f64 v[11:12], v[11:12], -v[29:30]
	;; [unrolled: 1-line block ×5, first 2 shown]
	v_fma_f64 v[37:38], -v[19:20], v[31:32], 1.0
	v_add_f64 v[21:22], v[25:26], -v[33:34]
	v_add_f64 v[29:30], v[11:12], v[17:18]
	v_add_f64 v[23:24], v[23:24], -v[35:36]
	v_fma_f64 v[25:26], v[31:32], v[37:38], v[31:32]
	v_div_scale_f64 v[31:32], vcc, v[6:7], v[15:16], v[6:7]
	v_add_f64 v[33:34], v[29:30], -v[11:12]
	v_add_f64 v[21:22], v[21:22], v[23:24]
	v_fma_f64 v[23:24], -v[19:20], v[25:26], 1.0
	v_add_f64 v[17:18], v[17:18], -v[33:34]
	v_add_f64 v[21:22], v[29:30], v[21:22]
	v_fma_f64 v[23:24], v[25:26], v[23:24], v[25:26]
	v_add_f64 v[25:26], v[29:30], -v[33:34]
	v_add_f64 v[29:30], v[27:28], v[21:22]
	v_mul_f64 v[35:36], v[31:32], v[23:24]
	v_add_f64 v[11:12], v[11:12], -v[25:26]
	v_add_f64 v[25:26], v[29:30], -v[27:28]
	v_fma_f64 v[19:20], -v[19:20], v[35:36], v[31:32]
	v_add_f64 v[11:12], v[17:18], v[11:12]
	v_add_f64 v[17:18], v[21:22], -v[25:26]
	v_div_fmas_f64 v[19:20], v[19:20], v[23:24], v[35:36]
	v_add_f64 v[11:12], v[11:12], v[17:18]
	v_add_f64 v[11:12], v[29:30], v[11:12]
	v_div_fixup_f64 v[6:7], v[19:20], v[15:16], v[6:7]
	v_mul_f64 v[11:12], v[11:12], s[10:11]
	v_fma_f64 v[6:7], v[11:12], v[13:14], v[6:7]
.LBB7_80:
	s_or_b64 exec, exec, s[8:9]
.LBB7_81:
	s_or_b64 exec, exec, s[2:3]
                                        ; implicit-def: $vgpr11_vgpr12
.LBB7_82:
	s_andn2_saveexec_b64 s[2:3], s[0:1]
	s_cbranch_execz .LBB7_92
; %bb.83:
	s_mov_b32 s11, 0xbfe921fb
	s_mov_b32 s10, 0x54442d18
	v_add_f64 v[15:16], v[11:12], s[10:11]
	s_mov_b32 s0, 0
	s_mov_b32 s1, 0x41d00000
                                        ; implicit-def: $vgpr9
                                        ; implicit-def: $vgpr17_vgpr18
                                        ; implicit-def: $vgpr19_vgpr20
	v_trig_preop_f64 v[25:26], |v[15:16]|, 0
	v_trig_preop_f64 v[23:24], |v[15:16]|, 1
	;; [unrolled: 1-line block ×3, first 2 shown]
	v_cmp_nlt_f64_e64 s[8:9], |v[15:16]|, s[0:1]
	s_and_saveexec_b64 s[0:1], s[8:9]
	s_xor_b64 s[12:13], exec, s[0:1]
	s_cbranch_execz .LBB7_85
; %bb.84:
	s_mov_b32 s0, 0
	s_mov_b32 s1, 0x7b000000
	s_movk_i32 s11, 0xff80
	v_ldexp_f64 v[6:7], |v[15:16]|, s11
	v_cmp_ge_f64_e64 vcc, |v[15:16]|, s[0:1]
	v_and_b32_e32 v4, 0x7fffffff, v16
	s_mov_b32 s0, 0
	s_mov_b32 s1, 0x7ff00000
	v_mov_b32_e32 v39, 0
	s_mov_b32 s11, 0x3ff921fb
	v_cndmask_b32_e32 v7, v4, v7, vcc
	v_cndmask_b32_e32 v6, v15, v6, vcc
	v_mul_f64 v[13:14], v[25:26], v[6:7]
	v_mul_f64 v[17:18], v[23:24], v[6:7]
	;; [unrolled: 1-line block ×3, first 2 shown]
	v_mov_b32_e32 v4, 0x40100000
	v_fma_f64 v[19:20], v[25:26], v[6:7], -v[13:14]
	v_fma_f64 v[35:36], v[23:24], v[6:7], -v[17:18]
	;; [unrolled: 1-line block ×3, first 2 shown]
	v_add_f64 v[27:28], v[17:18], v[19:20]
	v_add_f64 v[29:30], v[27:28], -v[17:18]
	v_add_f64 v[37:38], v[13:14], v[27:28]
	v_add_f64 v[31:32], v[27:28], -v[29:30]
	v_add_f64 v[19:20], v[19:20], -v[29:30]
	v_add_f64 v[29:30], v[33:34], v[35:36]
	v_add_f64 v[13:14], v[37:38], -v[13:14]
	v_add_f64 v[17:18], v[17:18], -v[31:32]
	v_ldexp_f64 v[31:32], v[37:38], -2
	v_add_f64 v[41:42], v[29:30], -v[33:34]
	v_add_f64 v[13:14], v[27:28], -v[13:14]
	v_add_f64 v[17:18], v[19:20], v[17:18]
	v_fract_f64_e32 v[19:20], v[31:32]
	v_cmp_neq_f64_e64 vcc, |v[31:32]|, s[0:1]
	v_add_f64 v[35:36], v[35:36], -v[41:42]
	v_add_f64 v[27:28], v[29:30], v[17:18]
	v_ldexp_f64 v[19:20], v[19:20], 2
	v_add_f64 v[31:32], v[13:14], v[27:28]
	v_cndmask_b32_e32 v20, 0, v20, vcc
	v_cndmask_b32_e32 v19, 0, v19, vcc
	v_add_f64 v[43:44], v[27:28], -v[29:30]
	v_add_f64 v[37:38], v[31:32], v[19:20]
	v_add_f64 v[13:14], v[31:32], -v[13:14]
	v_add_f64 v[45:46], v[27:28], -v[43:44]
	;; [unrolled: 1-line block ×3, first 2 shown]
	v_cmp_gt_f64_e32 vcc, 0, v[37:38]
	v_add_f64 v[37:38], v[29:30], -v[41:42]
	v_add_f64 v[13:14], v[27:28], -v[13:14]
	;; [unrolled: 1-line block ×3, first 2 shown]
	v_cndmask_b32_e32 v40, 0, v4, vcc
	v_add_f64 v[19:20], v[19:20], v[39:40]
	v_add_f64 v[37:38], v[33:34], -v[37:38]
	v_add_f64 v[17:18], v[17:18], v[29:30]
	v_add_f64 v[47:48], v[31:32], v[19:20]
	;; [unrolled: 1-line block ×3, first 2 shown]
	v_cvt_i32_f64_e32 v4, v[47:48]
	v_add_f64 v[17:18], v[35:36], v[17:18]
	v_cvt_f64_i32_e32 v[40:41], v4
	v_add_f64 v[19:20], v[19:20], -v[40:41]
	v_add_f64 v[6:7], v[6:7], v[17:18]
	v_add_f64 v[29:30], v[31:32], v[19:20]
	;; [unrolled: 1-line block ×3, first 2 shown]
	v_add_f64 v[17:18], v[29:30], -v[19:20]
	v_cmp_le_f64_e32 vcc, 0.5, v[29:30]
	v_add_f64 v[13:14], v[31:32], -v[17:18]
	v_mov_b32_e32 v17, 0x3ff00000
	v_cndmask_b32_e32 v40, 0, v17, vcc
	v_addc_co_u32_e64 v9, s[0:1], 0, v4, vcc
	s_mov_b32 s0, 0x33145c07
	s_mov_b32 s1, 0x3c91a626
	v_add_f64 v[6:7], v[6:7], v[13:14]
	v_add_f64 v[13:14], v[29:30], -v[39:40]
	v_add_f64 v[17:18], v[13:14], v[6:7]
	v_mul_f64 v[19:20], v[17:18], s[10:11]
	v_add_f64 v[13:14], v[17:18], -v[13:14]
	v_fma_f64 v[27:28], v[17:18], s[10:11], -v[19:20]
	v_add_f64 v[6:7], v[6:7], -v[13:14]
	v_fma_f64 v[13:14], v[17:18], s[0:1], v[27:28]
	v_fma_f64 v[6:7], v[6:7], s[10:11], v[13:14]
	v_add_f64 v[17:18], v[19:20], v[6:7]
	v_add_f64 v[13:14], v[17:18], -v[19:20]
	v_add_f64 v[19:20], v[6:7], -v[13:14]
	s_andn2_saveexec_b64 s[0:1], s[12:13]
	s_cbranch_execz .LBB7_87
	s_branch .LBB7_86
.LBB7_85:
	s_andn2_saveexec_b64 s[0:1], s[12:13]
	s_cbranch_execz .LBB7_87
.LBB7_86:
	s_mov_b32 s10, 0x6dc9c883
	s_mov_b32 s11, 0x3fe45f30
	v_mul_f64 v[6:7], |v[15:16]|, s[10:11]
	s_mov_b32 s10, 0x54442d18
	s_mov_b32 s11, 0xbff921fb
	;; [unrolled: 1-line block ×4, first 2 shown]
	v_rndne_f64_e32 v[6:7], v[6:7]
	v_fma_f64 v[13:14], v[6:7], s[10:11], |v[15:16]|
	v_mul_f64 v[17:18], v[6:7], s[12:13]
	s_mov_b32 s10, 0x252049c0
	s_mov_b32 s11, 0xb97b839a
	v_cvt_i32_f64_e32 v9, v[6:7]
	v_add_f64 v[19:20], v[13:14], v[17:18]
	v_add_f64 v[27:28], v[13:14], -v[19:20]
	v_fma_f64 v[13:14], v[6:7], s[12:13], v[13:14]
	s_mov_b32 s13, 0x3c91a626
	v_add_f64 v[27:28], v[27:28], v[17:18]
	v_add_f64 v[19:20], v[19:20], -v[13:14]
	v_fma_f64 v[17:18], v[6:7], s[12:13], v[17:18]
	v_add_f64 v[19:20], v[19:20], v[27:28]
	v_add_f64 v[17:18], v[19:20], -v[17:18]
	v_fma_f64 v[19:20], v[6:7], s[10:11], v[17:18]
	v_add_f64 v[17:18], v[13:14], v[19:20]
	v_add_f64 v[13:14], v[17:18], -v[13:14]
	v_add_f64 v[19:20], v[19:20], -v[13:14]
.LBB7_87:
	s_or_b64 exec, exec, s[0:1]
                                        ; implicit-def: $vgpr4
                                        ; implicit-def: $vgpr6_vgpr7
                                        ; implicit-def: $vgpr13_vgpr14
	s_and_saveexec_b64 s[0:1], s[8:9]
	s_xor_b64 s[0:1], exec, s[0:1]
	s_cbranch_execz .LBB7_89
; %bb.88:
	s_mov_b32 s8, 0
	s_mov_b32 s9, 0x7b000000
	s_movk_i32 s10, 0xff80
	v_ldexp_f64 v[6:7], |v[15:16]|, s10
	v_cmp_ge_f64_e64 vcc, |v[15:16]|, s[8:9]
	v_and_b32_e32 v4, 0x7fffffff, v16
	s_mov_b32 s8, 0
	s_mov_b32 s9, 0x7ff00000
	v_mov_b32_e32 v39, 0
	s_mov_b32 s10, 0x33145c07
	s_mov_b32 s11, 0x3c91a626
	v_cndmask_b32_e32 v7, v4, v7, vcc
	v_cndmask_b32_e32 v6, v15, v6, vcc
	v_mul_f64 v[13:14], v[25:26], v[6:7]
	v_mul_f64 v[27:28], v[23:24], v[6:7]
	;; [unrolled: 1-line block ×3, first 2 shown]
	v_mov_b32_e32 v4, 0x40100000
	v_fma_f64 v[25:26], v[25:26], v[6:7], -v[13:14]
	v_fma_f64 v[23:24], v[23:24], v[6:7], -v[27:28]
	;; [unrolled: 1-line block ×3, first 2 shown]
	v_add_f64 v[29:30], v[27:28], v[25:26]
	v_add_f64 v[31:32], v[29:30], -v[27:28]
	v_add_f64 v[37:38], v[13:14], v[29:30]
	v_add_f64 v[33:34], v[29:30], -v[31:32]
	v_add_f64 v[25:26], v[25:26], -v[31:32]
	v_add_f64 v[31:32], v[35:36], v[23:24]
	v_add_f64 v[13:14], v[37:38], -v[13:14]
	v_add_f64 v[27:28], v[27:28], -v[33:34]
	v_ldexp_f64 v[33:34], v[37:38], -2
	v_add_f64 v[13:14], v[29:30], -v[13:14]
	v_add_f64 v[25:26], v[25:26], v[27:28]
	v_fract_f64_e32 v[27:28], v[33:34]
	v_cmp_neq_f64_e64 vcc, |v[33:34]|, s[8:9]
	s_mov_b32 s8, 0x54442d18
	s_mov_b32 s9, 0x3ff921fb
	v_add_f64 v[29:30], v[31:32], v[25:26]
	v_ldexp_f64 v[27:28], v[27:28], 2
	v_add_f64 v[33:34], v[13:14], v[29:30]
	v_cndmask_b32_e32 v28, 0, v28, vcc
	v_cndmask_b32_e32 v27, 0, v27, vcc
	v_add_f64 v[41:42], v[29:30], -v[31:32]
	v_add_f64 v[37:38], v[33:34], v[27:28]
	v_add_f64 v[13:14], v[33:34], -v[13:14]
	v_add_f64 v[45:46], v[29:30], -v[41:42]
	v_add_f64 v[25:26], v[25:26], -v[41:42]
	v_cmp_gt_f64_e32 vcc, 0, v[37:38]
	v_add_f64 v[37:38], v[31:32], -v[35:36]
	v_add_f64 v[13:14], v[29:30], -v[13:14]
	v_cndmask_b32_e32 v40, 0, v4, vcc
	v_add_f64 v[27:28], v[27:28], v[39:40]
	v_add_f64 v[43:44], v[31:32], -v[37:38]
	v_add_f64 v[23:24], v[23:24], -v[37:38]
	;; [unrolled: 1-line block ×3, first 2 shown]
	v_add_f64 v[47:48], v[33:34], v[27:28]
	v_add_f64 v[37:38], v[35:36], -v[43:44]
	v_add_f64 v[25:26], v[25:26], v[31:32]
	v_cvt_i32_f64_e32 v4, v[47:48]
	v_add_f64 v[23:24], v[23:24], v[37:38]
	v_cvt_f64_i32_e32 v[40:41], v4
	v_add_f64 v[27:28], v[27:28], -v[40:41]
	v_add_f64 v[21:22], v[23:24], v[25:26]
	v_add_f64 v[23:24], v[33:34], v[27:28]
	;; [unrolled: 1-line block ×3, first 2 shown]
	v_add_f64 v[21:22], v[23:24], -v[27:28]
	v_cmp_le_f64_e32 vcc, 0.5, v[23:24]
	v_add_f64 v[6:7], v[13:14], v[6:7]
	v_add_f64 v[13:14], v[33:34], -v[21:22]
	v_mov_b32_e32 v21, 0x3ff00000
	v_cndmask_b32_e32 v40, 0, v21, vcc
	v_addc_co_u32_e32 v4, vcc, 0, v4, vcc
	v_add_f64 v[6:7], v[6:7], v[13:14]
	v_add_f64 v[13:14], v[23:24], -v[39:40]
	v_add_f64 v[21:22], v[13:14], v[6:7]
	v_mul_f64 v[23:24], v[21:22], s[8:9]
	v_add_f64 v[13:14], v[21:22], -v[13:14]
	v_fma_f64 v[25:26], v[21:22], s[8:9], -v[23:24]
	v_add_f64 v[6:7], v[6:7], -v[13:14]
	v_fma_f64 v[13:14], v[21:22], s[10:11], v[25:26]
	v_fma_f64 v[13:14], v[6:7], s[8:9], v[13:14]
	v_add_f64 v[6:7], v[23:24], v[13:14]
	v_add_f64 v[21:22], v[6:7], -v[23:24]
	v_add_f64 v[13:14], v[13:14], -v[21:22]
	s_andn2_saveexec_b64 s[0:1], s[0:1]
	s_cbranch_execnz .LBB7_90
	s_branch .LBB7_91
.LBB7_89:
	s_andn2_saveexec_b64 s[0:1], s[0:1]
	s_cbranch_execz .LBB7_91
.LBB7_90:
	s_mov_b32 s8, 0x6dc9c883
	s_mov_b32 s9, 0x3fe45f30
	v_mul_f64 v[6:7], |v[15:16]|, s[8:9]
	s_mov_b32 s8, 0x54442d18
	s_mov_b32 s9, 0xbff921fb
	;; [unrolled: 1-line block ×4, first 2 shown]
	v_rndne_f64_e32 v[21:22], v[6:7]
	v_fma_f64 v[6:7], v[21:22], s[8:9], |v[15:16]|
	v_mul_f64 v[13:14], v[21:22], s[10:11]
	s_mov_b32 s8, 0x252049c0
	s_mov_b32 s9, 0xb97b839a
	v_cvt_i32_f64_e32 v4, v[21:22]
	v_fma_f64 v[27:28], v[21:22], s[10:11], v[6:7]
	v_add_f64 v[23:24], v[6:7], v[13:14]
	s_mov_b32 s11, 0x3c91a626
	v_add_f64 v[25:26], v[6:7], -v[23:24]
	v_add_f64 v[23:24], v[23:24], -v[27:28]
	v_add_f64 v[6:7], v[25:26], v[13:14]
	v_fma_f64 v[13:14], v[21:22], s[10:11], v[13:14]
	v_add_f64 v[6:7], v[23:24], v[6:7]
	v_add_f64 v[6:7], v[6:7], -v[13:14]
	v_fma_f64 v[13:14], v[21:22], s[8:9], v[6:7]
	v_add_f64 v[6:7], v[27:28], v[13:14]
	v_add_f64 v[23:24], v[6:7], -v[27:28]
	v_add_f64 v[13:14], v[13:14], -v[23:24]
.LBB7_91:
	s_or_b64 exec, exec, s[0:1]
	v_mul_f64 v[21:22], v[11:12], v[11:12]
	s_mov_b32 s0, 0
	s_mov_b32 s1, 0x40390000
	;; [unrolled: 1-line block ×7, first 2 shown]
	v_div_scale_f64 v[23:24], s[8:9], v[21:22], v[21:22], s[0:1]
	s_mov_b32 s8, 0x46cc5e42
	s_mov_b32 s9, 0xbda907db
	;; [unrolled: 1-line block ×13, first 2 shown]
	v_mul_f64 v[39:40], v[19:20], 0.5
	v_rcp_f64_e32 v[25:26], v[23:24]
	s_mov_b32 s27, 0xbfc55555
	s_mov_b32 s26, s16
	;; [unrolled: 1-line block ×4, first 2 shown]
	v_fma_f64 v[27:28], -v[23:24], v[25:26], 1.0
	v_fma_f64 v[25:26], v[25:26], v[27:28], v[25:26]
	v_fma_f64 v[27:28], -v[23:24], v[25:26], 1.0
	v_fma_f64 v[25:26], v[25:26], v[27:28], v[25:26]
	v_div_scale_f64 v[27:28], vcc, s[0:1], v[21:22], s[0:1]
	v_mul_f64 v[29:30], v[27:28], v[25:26]
	v_fma_f64 v[23:24], -v[23:24], v[29:30], v[27:28]
	s_nop 1
	v_div_fmas_f64 v[23:24], v[23:24], v[25:26], v[29:30]
	v_mov_b32_e32 v29, 0x413c25ac
	v_mov_b32_e32 v30, 0x40501457
	v_div_fixup_f64 v[23:24], v[23:24], v[21:22], s[0:1]
	v_mov_b32_e32 v21, 0x983b6b27
	v_mov_b32_e32 v22, 0x3f4a1d30
	s_mov_b32 s0, 0xb35dd1cf
	s_mov_b32 s1, 0x3fb534b0
	v_fma_f64 v[21:22], v[23:24], 0, v[21:22]
	v_fma_f64 v[29:30], v[23:24], 0, v[29:30]
	;; [unrolled: 1-line block ×3, first 2 shown]
	s_mov_b32 s0, 0x4e680b98
	s_mov_b32 s1, 0x3ff3d521
	v_fma_f64 v[21:22], v[23:24], v[21:22], s[0:1]
	s_mov_b32 s0, 0xe97a0956
	s_mov_b32 s1, 0x4015c9fb
	v_fma_f64 v[21:22], v[23:24], v[21:22], s[0:1]
	;; [unrolled: 3-line block ×4, first 2 shown]
	v_mov_b32_e32 v21, 0xce039737
	v_mov_b32_e32 v22, 0x3f4e4a80
	v_fma_f64 v[21:22], v[23:24], 0, v[21:22]
	s_mov_b32 s0, 0xab5454e3
	s_mov_b32 s1, 0x3fb5ebc5
	v_fma_f64 v[21:22], v[23:24], v[21:22], s[0:1]
	s_mov_b32 s0, 0xc9b3069f
	s_mov_b32 s1, 0x3ff40e72
	;; [unrolled: 3-line block ×6, first 2 shown]
	v_fma_f64 v[27:28], v[23:24], v[21:22], 1.0
	v_mov_b32_e32 v21, 0x38a5384a
	v_mov_b32_e32 v22, 0xbf874742
	v_fma_f64 v[21:22], v[23:24], 0, v[21:22]
	v_fma_f64 v[21:22], v[23:24], v[21:22], s[0:1]
	s_mov_b32 s0, 0xf50e2c0c
	s_mov_b32 s1, 0xc0338dcf
	v_fma_f64 v[21:22], v[23:24], v[21:22], s[0:1]
	s_mov_b32 s0, 0x5a6de8c4
	s_mov_b32 s1, 0xc0574d2f
	;; [unrolled: 3-line block ×12, first 2 shown]
	v_fma_f64 v[29:30], v[23:24], v[29:30], s[0:1]
	v_fma_f64 v[23:24], v[23:24], v[25:26], 1.0
	v_div_scale_f64 v[25:26], s[0:1], v[27:28], v[27:28], v[23:24]
	s_mov_b32 s0, 0x9037ab78
	s_mov_b32 s1, 0x3e21eeb6
	v_rcp_f64_e32 v[31:32], v[25:26]
	v_fma_f64 v[33:34], -v[25:26], v[31:32], 1.0
	v_fma_f64 v[31:32], v[31:32], v[33:34], v[31:32]
	v_fma_f64 v[33:34], -v[25:26], v[31:32], 1.0
	v_fma_f64 v[31:32], v[31:32], v[33:34], v[31:32]
	v_div_scale_f64 v[33:34], vcc, v[23:24], v[27:28], v[23:24]
	v_mul_f64 v[35:36], v[33:34], v[31:32]
	v_fma_f64 v[25:26], -v[25:26], v[35:36], v[33:34]
	s_nop 1
	v_div_fmas_f64 v[25:26], v[25:26], v[31:32], v[35:36]
	v_mul_f64 v[31:32], v[17:18], v[17:18]
	v_mul_f64 v[35:36], v[31:32], v[31:32]
	v_div_fixup_f64 v[23:24], v[25:26], v[27:28], v[23:24]
	v_mul_f64 v[25:26], v[31:32], 0.5
	v_add_f64 v[27:28], -v[25:26], 1.0
	v_add_f64 v[33:34], -v[27:28], 1.0
	v_add_f64 v[33:34], v[33:34], -v[25:26]
	v_mov_b32_e32 v26, s1
	v_mov_b32_e32 v25, s0
	v_fma_f64 v[37:38], v[31:32], s[8:9], v[25:26]
	s_mov_b32 s0, 0xb42fdfa7
	s_mov_b32 s1, 0xbe5ae600
	v_fma_f64 v[33:34], v[17:18], -v[19:20], v[33:34]
	v_fma_f64 v[37:38], v[31:32], v[37:38], s[10:11]
	v_fma_f64 v[37:38], v[31:32], v[37:38], s[12:13]
	;; [unrolled: 1-line block ×5, first 2 shown]
	v_mul_f64 v[37:38], v[17:18], -v[31:32]
	v_add_f64 v[33:34], v[27:28], v[33:34]
	v_mov_b32_e32 v28, s1
	v_mov_b32_e32 v27, s0
	v_fma_f64 v[35:36], v[31:32], s[18:19], v[27:28]
	s_movk_i32 s0, 0x1f8
	v_cmp_class_f64_e64 s[0:1], v[15:16], s0
	v_fma_f64 v[35:36], v[31:32], v[35:36], s[20:21]
	v_fma_f64 v[35:36], v[31:32], v[35:36], s[22:23]
	;; [unrolled: 1-line block ×4, first 2 shown]
	v_fma_f64 v[19:20], v[31:32], v[35:36], -v[19:20]
	v_fma_f64 v[19:20], v[37:38], s[26:27], v[19:20]
	v_add_f64 v[17:18], v[17:18], -v[19:20]
	v_and_b32_e32 v19, 1, v9
	v_lshlrev_b32_e32 v9, 30, v9
	v_cmp_eq_u32_e32 vcc, 0, v19
	v_xor_b32_e32 v9, v9, v16
	v_and_b32_e32 v9, 0x80000000, v9
	v_cndmask_b32_e32 v18, v34, v18, vcc
	v_cndmask_b32_e32 v17, v33, v17, vcc
	v_xor_b32_e32 v18, v18, v9
	v_mov_b32_e32 v9, 0x7ff80000
	v_cndmask_b32_e64 v15, 0, v17, s[0:1]
	v_cndmask_b32_e64 v16, v9, v18, s[0:1]
	v_div_scale_f64 v[17:18], s[30:31], v[11:12], v[11:12], s[28:29]
	v_rcp_f64_e32 v[19:20], v[17:18]
	v_fma_f64 v[31:32], -v[17:18], v[19:20], 1.0
	v_fma_f64 v[19:20], v[19:20], v[31:32], v[19:20]
	v_fma_f64 v[31:32], -v[17:18], v[19:20], 1.0
	v_fma_f64 v[19:20], v[19:20], v[31:32], v[19:20]
	v_div_scale_f64 v[31:32], vcc, s[28:29], v[11:12], s[28:29]
	v_mul_f64 v[33:34], v[31:32], v[19:20]
	v_fma_f64 v[17:18], -v[17:18], v[33:34], v[31:32]
	s_nop 1
	v_div_fmas_f64 v[17:18], v[17:18], v[19:20], v[33:34]
	v_div_fixup_f64 v[17:18], v[17:18], v[11:12], s[28:29]
	v_div_scale_f64 v[19:20], s[28:29], v[29:30], v[29:30], v[21:22]
	v_rcp_f64_e32 v[31:32], v[19:20]
	v_fma_f64 v[33:34], -v[19:20], v[31:32], 1.0
	v_fma_f64 v[31:32], v[31:32], v[33:34], v[31:32]
	v_fma_f64 v[33:34], -v[19:20], v[31:32], 1.0
	v_fma_f64 v[31:32], v[31:32], v[33:34], v[31:32]
	v_div_scale_f64 v[33:34], vcc, v[21:22], v[29:30], v[21:22]
	v_mul_f64 v[35:36], v[33:34], v[31:32]
	v_fma_f64 v[19:20], -v[19:20], v[35:36], v[33:34]
	s_nop 1
	v_div_fmas_f64 v[19:20], v[19:20], v[31:32], v[35:36]
	v_div_fixup_f64 v[19:20], v[19:20], v[29:30], v[21:22]
	v_mul_f64 v[17:18], v[17:18], v[19:20]
	v_mul_f64 v[19:20], v[6:7], v[6:7]
	v_mul_f64 v[21:22], v[19:20], 0.5
	v_fma_f64 v[25:26], v[19:20], s[8:9], v[25:26]
	v_add_f64 v[29:30], -v[21:22], 1.0
	v_fma_f64 v[25:26], v[19:20], v[25:26], s[10:11]
	v_add_f64 v[31:32], -v[29:30], 1.0
	v_fma_f64 v[25:26], v[19:20], v[25:26], s[12:13]
	v_add_f64 v[21:22], v[31:32], -v[21:22]
	v_fma_f64 v[25:26], v[19:20], v[25:26], s[14:15]
	v_mul_f64 v[31:32], v[19:20], v[19:20]
	v_fma_f64 v[21:22], v[6:7], -v[13:14], v[21:22]
	v_fma_f64 v[25:26], v[19:20], v[25:26], s[16:17]
	v_fma_f64 v[21:22], v[31:32], v[25:26], v[21:22]
	;; [unrolled: 1-line block ×3, first 2 shown]
	v_mul_f64 v[27:28], v[6:7], -v[19:20]
	v_add_f64 v[21:22], v[29:30], v[21:22]
	v_fma_f64 v[25:26], v[19:20], v[25:26], s[20:21]
	v_mul_f64 v[29:30], v[13:14], 0.5
	v_fma_f64 v[25:26], v[19:20], v[25:26], s[22:23]
	v_fma_f64 v[25:26], v[19:20], v[25:26], s[24:25]
	;; [unrolled: 1-line block ×3, first 2 shown]
	v_fma_f64 v[13:14], v[19:20], v[25:26], -v[13:14]
	v_fma_f64 v[13:14], v[27:28], s[26:27], v[13:14]
	v_add_f64 v[6:7], v[6:7], -v[13:14]
	v_and_b32_e32 v13, 1, v4
	v_cmp_eq_u32_e32 vcc, 0, v13
	v_lshlrev_b32_e32 v4, 30, v4
	v_and_b32_e32 v4, 0x80000000, v4
	v_xor_b32_e32 v7, 0x80000000, v7
	v_cndmask_b32_e32 v7, v7, v22, vcc
	v_cndmask_b32_e32 v6, v6, v21, vcc
	v_xor_b32_e32 v4, v7, v4
	v_cndmask_b32_e64 v6, 0, v6, s[0:1]
	v_cndmask_b32_e64 v7, v9, v4, s[0:1]
	v_mul_f64 v[6:7], v[17:18], v[6:7]
	s_mov_b32 s0, 0x33d43651
	s_mov_b32 s1, 0x3fe98845
	v_mov_b32_e32 v4, 0x100
	v_fma_f64 v[6:7], v[23:24], v[15:16], v[6:7]
	v_mul_f64 v[6:7], v[6:7], s[0:1]
	s_mov_b32 s0, 0
	s_brev_b32 s1, 8
	v_cmp_gt_f64_e32 vcc, s[0:1], v[11:12]
	v_cndmask_b32_e32 v4, 0, v4, vcc
	v_ldexp_f64 v[11:12], v[11:12], v4
	v_mov_b32_e32 v4, 0xffffff80
	v_cndmask_b32_e32 v4, 0, v4, vcc
	v_rsq_f64_e32 v[13:14], v[11:12]
	v_mul_f64 v[15:16], v[11:12], v[13:14]
	v_mul_f64 v[13:14], v[13:14], 0.5
	v_fma_f64 v[17:18], -v[13:14], v[15:16], 0.5
	v_fma_f64 v[15:16], v[15:16], v[17:18], v[15:16]
	v_fma_f64 v[13:14], v[13:14], v[17:18], v[13:14]
	v_fma_f64 v[19:20], -v[15:16], v[15:16], v[11:12]
	v_fma_f64 v[15:16], v[19:20], v[13:14], v[15:16]
	v_fma_f64 v[17:18], -v[15:16], v[15:16], v[11:12]
	v_fma_f64 v[13:14], v[17:18], v[13:14], v[15:16]
	v_ldexp_f64 v[13:14], v[13:14], v4
	v_mov_b32_e32 v4, 0x260
	v_cmp_class_f64_e32 vcc, v[11:12], v4
	v_cndmask_b32_e32 v12, v14, v12, vcc
	v_cndmask_b32_e32 v11, v13, v11, vcc
	v_div_scale_f64 v[13:14], s[0:1], v[11:12], v[11:12], v[6:7]
	v_rcp_f64_e32 v[15:16], v[13:14]
	v_fma_f64 v[17:18], -v[13:14], v[15:16], 1.0
	v_fma_f64 v[15:16], v[15:16], v[17:18], v[15:16]
	v_fma_f64 v[17:18], -v[13:14], v[15:16], 1.0
	v_fma_f64 v[15:16], v[15:16], v[17:18], v[15:16]
	v_div_scale_f64 v[17:18], vcc, v[6:7], v[11:12], v[6:7]
	v_mul_f64 v[19:20], v[17:18], v[15:16]
	v_fma_f64 v[13:14], -v[13:14], v[19:20], v[17:18]
	s_nop 1
	v_div_fmas_f64 v[13:14], v[13:14], v[15:16], v[19:20]
	v_div_fixup_f64 v[6:7], v[13:14], v[11:12], v[6:7]
.LBB7_92:
	s_or_b64 exec, exec, s[2:3]
	global_load_dwordx2 v[11:12], v10, s[6:7]
	s_mov_b32 s0, 0
	s_mov_b32 s1, 0x40140000
                                        ; implicit-def: $vgpr9_vgpr10
	s_waitcnt vmcnt(0)
	v_cmp_ge_f64_e32 vcc, s[0:1], v[11:12]
	s_and_saveexec_b64 s[0:1], vcc
	s_xor_b64 s[0:1], exec, s[0:1]
	s_cbranch_execz .LBB7_102
; %bb.93:
	v_cmp_neq_f64_e32 vcc, 0, v[11:12]
	v_mov_b32_e32 v9, 0
	v_mov_b32_e32 v10, 0xfff00000
	s_and_saveexec_b64 s[2:3], vcc
	s_cbranch_execz .LBB7_101
; %bb.94:
	v_cmp_ngt_f64_e32 vcc, 0, v[11:12]
	v_mov_b32_e32 v9, 0
	v_mov_b32_e32 v10, 0x7ff80000
	s_and_saveexec_b64 s[8:9], vcc
	s_cbranch_execz .LBB7_100
; %bb.95:
	v_mul_f64 v[9:10], v[11:12], v[11:12]
	s_mov_b32 s10, 0x88e368f1
	s_mov_b32 s11, 0x3ee4f8b5
	v_cmp_ngt_f64_e32 vcc, s[10:11], v[11:12]
                                        ; implicit-def: $vgpr13_vgpr14
	v_mul_f64 v[15:16], v[9:10], 0
	s_and_saveexec_b64 s[10:11], vcc
	s_xor_b64 s[10:11], exec, s[10:11]
	s_cbranch_execz .LBB7_97
; %bb.96:
	s_mov_b32 s12, 0xa696b78c
	s_mov_b32 s13, 0x407f3902
	v_add_f64 v[13:14], v[15:16], s[12:13]
	s_mov_b32 s12, 0x36a21a67
	s_mov_b32 s13, 0x410536cb
	;; [unrolled: 1-line block ×7, first 2 shown]
	v_fma_f64 v[13:14], v[9:10], v[13:14], s[12:13]
	s_mov_b32 s12, 0x2eac0634
	s_mov_b32 s13, 0x41871934
	;; [unrolled: 1-line block ×3, first 2 shown]
	v_fma_f64 v[13:14], v[9:10], v[13:14], s[12:13]
	s_mov_b32 s12, 0xad1c8325
	s_mov_b32 s13, 0xc1f1dc53
	v_add_f64 v[17:18], v[15:16], s[12:13]
	s_mov_b32 s12, 0xe0d900f7
	s_mov_b32 s13, 0xc2ec5614
	v_fma_f64 v[13:14], v[9:10], v[13:14], s[16:17]
	s_mov_b32 s16, 0x72182e46
	s_mov_b32 s17, 0x427ebeb3
	v_fma_f64 v[17:18], v[9:10], v[17:18], s[14:15]
	s_mov_b32 s14, 0x80462bbb
	s_mov_b32 s15, 0xc01721fb
	v_add_f64 v[19:20], v[9:10], s[14:15]
	s_mov_b32 s14, 0x69ff5fb4
	v_fma_f64 v[13:14], v[9:10], v[13:14], s[16:17]
	s_mov_b32 s16, 0xa621dd6f
	s_mov_b32 s17, 0xc03e78a4
	v_add_f64 v[21:22], v[9:10], s[16:17]
	v_fma_f64 v[17:18], v[9:10], v[17:18], s[12:13]
	s_mov_b32 s12, 0x7e7b2e9c
	s_mov_b32 s13, 0x435c4141
	;; [unrolled: 1-line block ×3, first 2 shown]
	v_fma_f64 v[13:14], v[9:10], v[13:14], s[18:19]
	v_mul_f64 v[19:20], v[19:20], v[21:22]
	v_fma_f64 v[17:18], v[9:10], v[17:18], s[14:15]
	v_fma_f64 v[13:14], v[9:10], v[13:14], s[12:13]
	s_mov_b32 s12, 0xc7b662cc
	s_mov_b32 s13, 0x43b7be34
	v_mul_f64 v[17:18], v[19:20], v[17:18]
	v_fma_f64 v[13:14], v[9:10], v[13:14], s[12:13]
	v_div_scale_f64 v[19:20], s[12:13], v[13:14], v[13:14], v[17:18]
	v_div_scale_f64 v[25:26], vcc, v[17:18], v[13:14], v[17:18]
	v_rcp_f64_e32 v[21:22], v[19:20]
	v_fma_f64 v[23:24], -v[19:20], v[21:22], 1.0
	v_fma_f64 v[21:22], v[21:22], v[23:24], v[21:22]
	v_fma_f64 v[23:24], -v[19:20], v[21:22], 1.0
	v_fma_f64 v[21:22], v[21:22], v[23:24], v[21:22]
	v_mul_f64 v[23:24], v[25:26], v[21:22]
	v_fma_f64 v[19:20], -v[19:20], v[23:24], v[25:26]
	v_div_fmas_f64 v[19:20], v[19:20], v[21:22], v[23:24]
	v_div_fixup_f64 v[13:14], v[19:20], v[13:14], v[17:18]
.LBB7_97:
	s_andn2_saveexec_b64 s[10:11], s[10:11]
	s_cbranch_execz .LBB7_99
; %bb.98:
	s_mov_b32 s12, 0
	s_mov_b32 s13, 0xbfd00000
	v_fma_f64 v[13:14], v[9:10], s[12:13], 1.0
.LBB7_99:
	s_or_b64 exec, exec, s[10:11]
	v_frexp_mant_f64_e32 v[17:18], v[11:12]
	s_mov_b32 s11, 0x3fe55555
	s_mov_b32 s10, 0x55555555
	;; [unrolled: 1-line block ×7, first 2 shown]
	v_cmp_gt_f64_e32 vcc, s[10:11], v[17:18]
	s_mov_b32 s23, 0x3fcc71c0
	s_mov_b32 s14, 0x32e48896
	;; [unrolled: 1-line block ×7, first 2 shown]
	v_cndmask_b32_e64 v4, 0, 1, vcc
	v_ldexp_f64 v[17:18], v[17:18], v4
	v_frexp_exp_i32_f64_e32 v4, v[11:12]
	s_mov_b32 s21, 0x42d3ea72
	s_mov_b32 s24, 0x660b4003
	;; [unrolled: 1-line block ×3, first 2 shown]
	v_add_f64 v[19:20], v[17:18], 1.0
	v_add_f64 v[25:26], v[17:18], -1.0
	v_subbrev_co_u32_e32 v4, vcc, 0, v4, vcc
	v_rcp_f64_e32 v[21:22], v[19:20]
	v_add_f64 v[27:28], v[19:20], -1.0
	v_add_f64 v[17:18], v[17:18], -v[27:28]
	v_fma_f64 v[23:24], -v[19:20], v[21:22], 1.0
	v_fma_f64 v[21:22], v[23:24], v[21:22], v[21:22]
	v_fma_f64 v[23:24], -v[19:20], v[21:22], 1.0
	v_fma_f64 v[21:22], v[23:24], v[21:22], v[21:22]
	v_mul_f64 v[23:24], v[25:26], v[21:22]
	v_mul_f64 v[29:30], v[19:20], v[23:24]
	v_fma_f64 v[19:20], v[23:24], v[19:20], -v[29:30]
	v_fma_f64 v[17:18], v[23:24], v[17:18], v[19:20]
	v_add_f64 v[19:20], v[29:30], v[17:18]
	v_add_f64 v[27:28], v[25:26], -v[19:20]
	v_add_f64 v[29:30], v[19:20], -v[29:30]
	;; [unrolled: 1-line block ×5, first 2 shown]
	v_mov_b32_e32 v25, 0x6b47b09a
	v_mov_b32_e32 v26, 0x3fc38538
	v_add_f64 v[17:18], v[17:18], v[19:20]
	v_add_f64 v[17:18], v[27:28], v[17:18]
	v_mul_f64 v[17:18], v[21:22], v[17:18]
	v_add_f64 v[19:20], v[23:24], v[17:18]
	v_mul_f64 v[21:22], v[19:20], v[19:20]
	v_fma_f64 v[25:26], v[21:22], s[12:13], v[25:26]
	s_mov_b32 s12, 0xe896898f
	s_mov_b32 s13, 0x40ce7437
	v_add_f64 v[27:28], v[15:16], s[12:13]
	s_mov_b32 s12, 0x9b27acf1
	s_mov_b32 s13, 0x3fd24924
	v_mul_f64 v[29:30], v[19:20], v[21:22]
	v_fma_f64 v[25:26], v[21:22], v[25:26], s[16:17]
	s_mov_b32 s16, 0xf0284cdd
	s_mov_b32 s17, 0x41f43f78
	v_fma_f64 v[27:28], v[9:10], v[27:28], s[14:15]
	s_mov_b32 s14, 0x5164d101
	s_mov_b32 s15, 0x41b00763
	;; [unrolled: 3-line block ×3, first 2 shown]
	v_fma_f64 v[27:28], v[9:10], v[27:28], s[16:17]
	v_fma_f64 v[25:26], v[21:22], v[25:26], s[12:13]
	s_mov_b32 s12, 0x576dfcb6
	s_mov_b32 s13, 0x40904522
	v_add_f64 v[15:16], v[15:16], s[12:13]
	s_mov_b32 s12, 0x998ef7b6
	s_mov_b32 s13, 0x3fd99999
	v_fma_f64 v[25:26], v[21:22], v[25:26], s[12:13]
	s_mov_b32 s12, 0xa907bc0c
	s_mov_b32 s13, 0x41231b76
	v_fma_f64 v[15:16], v[9:10], v[15:16], s[12:13]
	;; [unrolled: 3-line block ×3, first 2 shown]
	v_fma_f64 v[25:26], v[9:10], v[27:28], s[18:19]
	v_ldexp_f64 v[27:28], v[19:20], 1
	v_fma_f64 v[15:16], v[9:10], v[15:16], s[14:15]
	s_mov_b32 s10, 0x2b8664bc
	s_mov_b32 s11, 0x42341ddb
	v_add_f64 v[19:20], v[19:20], -v[23:24]
	s_mov_b32 s14, 0xdfeb596d
	v_mul_f64 v[21:22], v[29:30], v[21:22]
	s_mov_b32 s15, 0x43268910
	v_fma_f64 v[11:12], v[9:10], v[15:16], s[10:11]
	v_fma_f64 v[15:16], v[9:10], v[25:26], s[20:21]
	v_cvt_f64_i32_e32 v[25:26], v4
	s_mov_b32 s10, 0xfefa39ef
	s_mov_b32 s11, 0x3fe62e42
	v_add_f64 v[23:24], v[27:28], v[21:22]
	v_mul_f64 v[29:30], v[25:26], s[10:11]
	v_add_f64 v[17:18], v[17:18], -v[19:20]
	v_fma_f64 v[11:12], v[9:10], v[11:12], s[12:13]
	v_fma_f64 v[15:16], v[9:10], v[15:16], s[22:23]
	s_mov_b32 s12, 0xbcf9b5d0
	s_mov_b32 s13, 0x438bd25f
	v_add_f64 v[19:20], v[23:24], -v[27:28]
	v_fma_f64 v[27:28], v[25:26], s[10:11], -v[29:30]
	v_ldexp_f64 v[17:18], v[17:18], 1
	v_fma_f64 v[11:12], v[9:10], v[11:12], s[14:15]
	v_fma_f64 v[15:16], v[9:10], v[15:16], s[24:25]
	s_mov_b32 s10, 0x5906367b
	s_mov_b32 s11, 0xc3506d4b
	v_add_f64 v[19:20], v[21:22], -v[19:20]
	v_fma_f64 v[11:12], v[9:10], v[11:12], s[12:13]
	v_fma_f64 v[9:10], v[9:10], v[15:16], s[10:11]
	s_mov_b32 s10, 0x3b39803f
	s_mov_b32 s11, 0x3c7abc9e
	v_fma_f64 v[15:16], v[25:26], s[10:11], v[27:28]
	v_add_f64 v[17:18], v[17:18], v[19:20]
	v_div_scale_f64 v[19:20], s[10:11], v[11:12], v[11:12], v[9:10]
	s_mov_b32 s10, 0x6dc9c883
	v_add_f64 v[21:22], v[29:30], v[15:16]
	v_add_f64 v[25:26], v[23:24], v[17:18]
	s_mov_b32 s11, 0x3fe45f30
	v_add_f64 v[29:30], v[21:22], -v[29:30]
	v_add_f64 v[27:28], v[21:22], v[25:26]
	v_add_f64 v[23:24], v[25:26], -v[23:24]
	v_rcp_f64_e32 v[31:32], v[19:20]
	v_add_f64 v[15:16], v[15:16], -v[29:30]
	v_add_f64 v[33:34], v[27:28], -v[21:22]
	;; [unrolled: 1-line block ×5, first 2 shown]
	v_add_f64 v[29:30], v[15:16], v[17:18]
	v_fma_f64 v[37:38], -v[19:20], v[31:32], 1.0
	v_add_f64 v[21:22], v[21:22], -v[35:36]
	v_add_f64 v[33:34], v[29:30], -v[15:16]
	v_fma_f64 v[25:26], v[31:32], v[37:38], v[31:32]
	v_div_scale_f64 v[31:32], vcc, v[9:10], v[11:12], v[9:10]
	v_add_f64 v[21:22], v[23:24], v[21:22]
	v_add_f64 v[17:18], v[17:18], -v[33:34]
	v_fma_f64 v[23:24], -v[19:20], v[25:26], 1.0
	v_add_f64 v[21:22], v[29:30], v[21:22]
	v_fma_f64 v[23:24], v[25:26], v[23:24], v[25:26]
	v_add_f64 v[25:26], v[29:30], -v[33:34]
	v_add_f64 v[29:30], v[27:28], v[21:22]
	v_mul_f64 v[35:36], v[31:32], v[23:24]
	v_add_f64 v[15:16], v[15:16], -v[25:26]
	v_add_f64 v[25:26], v[29:30], -v[27:28]
	v_fma_f64 v[19:20], -v[19:20], v[35:36], v[31:32]
	v_add_f64 v[15:16], v[17:18], v[15:16]
	v_add_f64 v[17:18], v[21:22], -v[25:26]
	v_div_fmas_f64 v[19:20], v[19:20], v[23:24], v[35:36]
	v_add_f64 v[15:16], v[15:16], v[17:18]
	v_add_f64 v[15:16], v[29:30], v[15:16]
	v_div_fixup_f64 v[9:10], v[19:20], v[11:12], v[9:10]
	v_mul_f64 v[11:12], v[15:16], s[10:11]
	v_fma_f64 v[9:10], v[11:12], v[13:14], v[9:10]
.LBB7_100:
	s_or_b64 exec, exec, s[8:9]
.LBB7_101:
	s_or_b64 exec, exec, s[2:3]
                                        ; implicit-def: $vgpr11_vgpr12
.LBB7_102:
	s_andn2_saveexec_b64 s[2:3], s[0:1]
	s_cbranch_execz .LBB7_112
; %bb.103:
	s_mov_b32 s11, 0xbfe921fb
	s_mov_b32 s10, 0x54442d18
	v_add_f64 v[15:16], v[11:12], s[10:11]
	s_mov_b32 s0, 0
	s_mov_b32 s1, 0x41d00000
                                        ; implicit-def: $vgpr31
                                        ; implicit-def: $vgpr17_vgpr18
                                        ; implicit-def: $vgpr19_vgpr20
	v_trig_preop_f64 v[25:26], |v[15:16]|, 0
	v_trig_preop_f64 v[23:24], |v[15:16]|, 1
	;; [unrolled: 1-line block ×3, first 2 shown]
	v_cmp_nlt_f64_e64 s[8:9], |v[15:16]|, s[0:1]
	s_and_saveexec_b64 s[0:1], s[8:9]
	s_xor_b64 s[12:13], exec, s[0:1]
	s_cbranch_execz .LBB7_105
; %bb.104:
	s_mov_b32 s0, 0
	s_mov_b32 s1, 0x7b000000
	s_movk_i32 s11, 0xff80
	v_ldexp_f64 v[9:10], |v[15:16]|, s11
	v_cmp_ge_f64_e64 vcc, |v[15:16]|, s[0:1]
	v_and_b32_e32 v4, 0x7fffffff, v16
	s_mov_b32 s0, 0
	s_mov_b32 s1, 0x7ff00000
	v_mov_b32_e32 v39, 0
	s_mov_b32 s11, 0x3ff921fb
	v_cndmask_b32_e32 v10, v4, v10, vcc
	v_cndmask_b32_e32 v9, v15, v9, vcc
	v_mul_f64 v[13:14], v[25:26], v[9:10]
	v_mul_f64 v[17:18], v[23:24], v[9:10]
	;; [unrolled: 1-line block ×3, first 2 shown]
	v_mov_b32_e32 v4, 0x40100000
	v_fma_f64 v[19:20], v[25:26], v[9:10], -v[13:14]
	v_fma_f64 v[35:36], v[23:24], v[9:10], -v[17:18]
	;; [unrolled: 1-line block ×3, first 2 shown]
	v_add_f64 v[27:28], v[17:18], v[19:20]
	v_add_f64 v[29:30], v[27:28], -v[17:18]
	v_add_f64 v[37:38], v[13:14], v[27:28]
	v_add_f64 v[31:32], v[27:28], -v[29:30]
	v_add_f64 v[19:20], v[19:20], -v[29:30]
	v_add_f64 v[29:30], v[33:34], v[35:36]
	v_add_f64 v[13:14], v[37:38], -v[13:14]
	v_add_f64 v[17:18], v[17:18], -v[31:32]
	v_ldexp_f64 v[31:32], v[37:38], -2
	v_add_f64 v[41:42], v[29:30], -v[33:34]
	v_add_f64 v[13:14], v[27:28], -v[13:14]
	v_add_f64 v[17:18], v[19:20], v[17:18]
	v_fract_f64_e32 v[19:20], v[31:32]
	v_cmp_neq_f64_e64 vcc, |v[31:32]|, s[0:1]
	v_add_f64 v[35:36], v[35:36], -v[41:42]
	v_add_f64 v[27:28], v[29:30], v[17:18]
	v_ldexp_f64 v[19:20], v[19:20], 2
	v_add_f64 v[31:32], v[13:14], v[27:28]
	v_cndmask_b32_e32 v20, 0, v20, vcc
	v_cndmask_b32_e32 v19, 0, v19, vcc
	v_add_f64 v[43:44], v[27:28], -v[29:30]
	v_add_f64 v[37:38], v[31:32], v[19:20]
	v_add_f64 v[13:14], v[31:32], -v[13:14]
	v_add_f64 v[45:46], v[27:28], -v[43:44]
	v_add_f64 v[17:18], v[17:18], -v[43:44]
	v_cmp_gt_f64_e32 vcc, 0, v[37:38]
	v_add_f64 v[37:38], v[29:30], -v[41:42]
	v_add_f64 v[13:14], v[27:28], -v[13:14]
	;; [unrolled: 1-line block ×3, first 2 shown]
	v_cndmask_b32_e32 v40, 0, v4, vcc
	v_add_f64 v[19:20], v[19:20], v[39:40]
	v_add_f64 v[37:38], v[33:34], -v[37:38]
	v_add_f64 v[17:18], v[17:18], v[29:30]
	v_add_f64 v[47:48], v[31:32], v[19:20]
	;; [unrolled: 1-line block ×3, first 2 shown]
	v_cvt_i32_f64_e32 v4, v[47:48]
	v_add_f64 v[17:18], v[35:36], v[17:18]
	v_cvt_f64_i32_e32 v[40:41], v4
	v_add_f64 v[19:20], v[19:20], -v[40:41]
	v_add_f64 v[9:10], v[9:10], v[17:18]
	v_add_f64 v[29:30], v[31:32], v[19:20]
	;; [unrolled: 1-line block ×3, first 2 shown]
	v_add_f64 v[17:18], v[29:30], -v[19:20]
	v_cmp_le_f64_e32 vcc, 0.5, v[29:30]
	v_add_f64 v[13:14], v[31:32], -v[17:18]
	v_mov_b32_e32 v17, 0x3ff00000
	v_cndmask_b32_e32 v40, 0, v17, vcc
	v_addc_co_u32_e64 v31, s[0:1], 0, v4, vcc
	s_mov_b32 s0, 0x33145c07
	s_mov_b32 s1, 0x3c91a626
	v_add_f64 v[9:10], v[9:10], v[13:14]
	v_add_f64 v[13:14], v[29:30], -v[39:40]
	v_add_f64 v[17:18], v[13:14], v[9:10]
	v_mul_f64 v[19:20], v[17:18], s[10:11]
	v_add_f64 v[13:14], v[17:18], -v[13:14]
	v_fma_f64 v[27:28], v[17:18], s[10:11], -v[19:20]
	v_add_f64 v[9:10], v[9:10], -v[13:14]
	v_fma_f64 v[13:14], v[17:18], s[0:1], v[27:28]
	v_fma_f64 v[9:10], v[9:10], s[10:11], v[13:14]
	v_add_f64 v[17:18], v[19:20], v[9:10]
	v_add_f64 v[13:14], v[17:18], -v[19:20]
	v_add_f64 v[19:20], v[9:10], -v[13:14]
	s_andn2_saveexec_b64 s[0:1], s[12:13]
	s_cbranch_execz .LBB7_107
	s_branch .LBB7_106
.LBB7_105:
	s_andn2_saveexec_b64 s[0:1], s[12:13]
	s_cbranch_execz .LBB7_107
.LBB7_106:
	s_mov_b32 s10, 0x6dc9c883
	s_mov_b32 s11, 0x3fe45f30
	v_mul_f64 v[9:10], |v[15:16]|, s[10:11]
	s_mov_b32 s10, 0x54442d18
	s_mov_b32 s11, 0xbff921fb
	;; [unrolled: 1-line block ×4, first 2 shown]
	v_rndne_f64_e32 v[9:10], v[9:10]
	v_fma_f64 v[13:14], v[9:10], s[10:11], |v[15:16]|
	v_mul_f64 v[17:18], v[9:10], s[12:13]
	s_mov_b32 s10, 0x252049c0
	s_mov_b32 s11, 0xb97b839a
	v_cvt_i32_f64_e32 v31, v[9:10]
	v_add_f64 v[19:20], v[13:14], v[17:18]
	v_add_f64 v[27:28], v[13:14], -v[19:20]
	v_fma_f64 v[13:14], v[9:10], s[12:13], v[13:14]
	s_mov_b32 s13, 0x3c91a626
	v_add_f64 v[27:28], v[27:28], v[17:18]
	v_add_f64 v[19:20], v[19:20], -v[13:14]
	v_fma_f64 v[17:18], v[9:10], s[12:13], v[17:18]
	v_add_f64 v[19:20], v[19:20], v[27:28]
	v_add_f64 v[17:18], v[19:20], -v[17:18]
	v_fma_f64 v[19:20], v[9:10], s[10:11], v[17:18]
	v_add_f64 v[17:18], v[13:14], v[19:20]
	v_add_f64 v[13:14], v[17:18], -v[13:14]
	v_add_f64 v[19:20], v[19:20], -v[13:14]
.LBB7_107:
	s_or_b64 exec, exec, s[0:1]
                                        ; implicit-def: $vgpr4
                                        ; implicit-def: $vgpr9_vgpr10
                                        ; implicit-def: $vgpr13_vgpr14
	s_and_saveexec_b64 s[0:1], s[8:9]
	s_xor_b64 s[8:9], exec, s[0:1]
	s_cbranch_execz .LBB7_109
; %bb.108:
	s_mov_b32 s0, 0
	s_mov_b32 s1, 0x7b000000
	s_movk_i32 s10, 0xff80
	v_ldexp_f64 v[9:10], |v[15:16]|, s10
	v_cmp_ge_f64_e64 vcc, |v[15:16]|, s[0:1]
	v_and_b32_e32 v4, 0x7fffffff, v16
	s_mov_b32 s0, 0
	s_mov_b32 s1, 0x7ff00000
	v_mov_b32_e32 v40, 0
	s_mov_b32 s10, 0x33145c07
	s_mov_b32 s11, 0x3c91a626
	v_cndmask_b32_e32 v10, v4, v10, vcc
	v_cndmask_b32_e32 v9, v15, v9, vcc
	v_mul_f64 v[13:14], v[25:26], v[9:10]
	v_mul_f64 v[27:28], v[23:24], v[9:10]
	;; [unrolled: 1-line block ×3, first 2 shown]
	v_mov_b32_e32 v4, 0x40100000
	v_fma_f64 v[25:26], v[25:26], v[9:10], -v[13:14]
	v_fma_f64 v[23:24], v[23:24], v[9:10], -v[27:28]
	;; [unrolled: 1-line block ×3, first 2 shown]
	v_add_f64 v[29:30], v[27:28], v[25:26]
	v_add_f64 v[32:33], v[29:30], -v[27:28]
	v_add_f64 v[38:39], v[13:14], v[29:30]
	v_add_f64 v[34:35], v[29:30], -v[32:33]
	v_add_f64 v[25:26], v[25:26], -v[32:33]
	v_add_f64 v[32:33], v[36:37], v[23:24]
	v_add_f64 v[13:14], v[38:39], -v[13:14]
	v_add_f64 v[27:28], v[27:28], -v[34:35]
	v_ldexp_f64 v[34:35], v[38:39], -2
	v_add_f64 v[42:43], v[32:33], -v[36:37]
	v_add_f64 v[13:14], v[29:30], -v[13:14]
	v_add_f64 v[25:26], v[25:26], v[27:28]
	v_fract_f64_e32 v[27:28], v[34:35]
	v_cmp_neq_f64_e64 vcc, |v[34:35]|, s[0:1]
	v_add_f64 v[23:24], v[23:24], -v[42:43]
	v_add_f64 v[29:30], v[32:33], v[25:26]
	v_ldexp_f64 v[27:28], v[27:28], 2
	v_add_f64 v[34:35], v[13:14], v[29:30]
	v_cndmask_b32_e32 v28, 0, v28, vcc
	v_cndmask_b32_e32 v27, 0, v27, vcc
	v_add_f64 v[44:45], v[29:30], -v[32:33]
	v_add_f64 v[38:39], v[34:35], v[27:28]
	v_add_f64 v[13:14], v[34:35], -v[13:14]
	v_add_f64 v[46:47], v[29:30], -v[44:45]
	;; [unrolled: 1-line block ×3, first 2 shown]
	v_cmp_gt_f64_e32 vcc, 0, v[38:39]
	v_add_f64 v[38:39], v[32:33], -v[42:43]
	v_add_f64 v[13:14], v[29:30], -v[13:14]
	v_add_f64 v[32:33], v[32:33], -v[46:47]
	v_cndmask_b32_e32 v41, 0, v4, vcc
	v_add_f64 v[27:28], v[27:28], v[40:41]
	v_add_f64 v[38:39], v[36:37], -v[38:39]
	v_add_f64 v[25:26], v[25:26], v[32:33]
	v_add_f64 v[48:49], v[34:35], v[27:28]
	;; [unrolled: 1-line block ×3, first 2 shown]
	v_cvt_i32_f64_e32 v4, v[48:49]
	v_add_f64 v[21:22], v[23:24], v[25:26]
	v_cvt_f64_i32_e32 v[41:42], v4
	v_add_f64 v[27:28], v[27:28], -v[41:42]
	v_add_f64 v[9:10], v[9:10], v[21:22]
	v_add_f64 v[23:24], v[34:35], v[27:28]
	;; [unrolled: 1-line block ×3, first 2 shown]
	v_add_f64 v[21:22], v[23:24], -v[27:28]
	v_cmp_le_f64_e32 vcc, 0.5, v[23:24]
	v_add_f64 v[13:14], v[34:35], -v[21:22]
	v_mov_b32_e32 v21, 0x3ff00000
	v_cndmask_b32_e32 v41, 0, v21, vcc
	v_addc_co_u32_e64 v4, s[0:1], 0, v4, vcc
	s_mov_b32 s0, 0x54442d18
	s_mov_b32 s1, 0x3ff921fb
	v_add_f64 v[9:10], v[9:10], v[13:14]
	v_add_f64 v[13:14], v[23:24], -v[40:41]
	v_add_f64 v[21:22], v[13:14], v[9:10]
	v_mul_f64 v[23:24], v[21:22], s[0:1]
	v_add_f64 v[13:14], v[21:22], -v[13:14]
	v_fma_f64 v[25:26], v[21:22], s[0:1], -v[23:24]
	v_add_f64 v[9:10], v[9:10], -v[13:14]
	v_fma_f64 v[13:14], v[21:22], s[10:11], v[25:26]
	v_fma_f64 v[13:14], v[9:10], s[0:1], v[13:14]
	v_add_f64 v[9:10], v[23:24], v[13:14]
	v_add_f64 v[21:22], v[9:10], -v[23:24]
	v_add_f64 v[13:14], v[13:14], -v[21:22]
	s_andn2_saveexec_b64 s[0:1], s[8:9]
	s_cbranch_execnz .LBB7_110
	s_branch .LBB7_111
.LBB7_109:
	s_andn2_saveexec_b64 s[0:1], s[8:9]
	s_cbranch_execz .LBB7_111
.LBB7_110:
	s_mov_b32 s8, 0x6dc9c883
	s_mov_b32 s9, 0x3fe45f30
	v_mul_f64 v[9:10], |v[15:16]|, s[8:9]
	s_mov_b32 s8, 0x54442d18
	s_mov_b32 s9, 0xbff921fb
	;; [unrolled: 1-line block ×4, first 2 shown]
	v_rndne_f64_e32 v[21:22], v[9:10]
	v_fma_f64 v[9:10], v[21:22], s[8:9], |v[15:16]|
	v_mul_f64 v[13:14], v[21:22], s[10:11]
	s_mov_b32 s8, 0x252049c0
	s_mov_b32 s9, 0xb97b839a
	v_cvt_i32_f64_e32 v4, v[21:22]
	v_fma_f64 v[27:28], v[21:22], s[10:11], v[9:10]
	v_add_f64 v[23:24], v[9:10], v[13:14]
	s_mov_b32 s11, 0x3c91a626
	v_add_f64 v[25:26], v[9:10], -v[23:24]
	v_add_f64 v[23:24], v[23:24], -v[27:28]
	v_add_f64 v[9:10], v[25:26], v[13:14]
	v_fma_f64 v[13:14], v[21:22], s[10:11], v[13:14]
	v_add_f64 v[9:10], v[23:24], v[9:10]
	v_add_f64 v[9:10], v[9:10], -v[13:14]
	v_fma_f64 v[13:14], v[21:22], s[8:9], v[9:10]
	v_add_f64 v[9:10], v[27:28], v[13:14]
	v_add_f64 v[23:24], v[9:10], -v[27:28]
	v_add_f64 v[13:14], v[13:14], -v[23:24]
.LBB7_111:
	s_or_b64 exec, exec, s[0:1]
	v_mul_f64 v[21:22], v[11:12], v[11:12]
	s_mov_b32 s0, 0
	s_mov_b32 s1, 0x40390000
	;; [unrolled: 1-line block ×7, first 2 shown]
	v_div_scale_f64 v[23:24], s[8:9], v[21:22], v[21:22], s[0:1]
	s_mov_b32 s8, 0x46cc5e42
	s_mov_b32 s9, 0xbda907db
	;; [unrolled: 1-line block ×13, first 2 shown]
	v_mul_f64 v[40:41], v[19:20], 0.5
	v_rcp_f64_e32 v[25:26], v[23:24]
	s_mov_b32 s27, 0xbfc55555
	s_mov_b32 s26, s16
	;; [unrolled: 1-line block ×4, first 2 shown]
	v_fma_f64 v[27:28], -v[23:24], v[25:26], 1.0
	v_fma_f64 v[25:26], v[25:26], v[27:28], v[25:26]
	v_fma_f64 v[27:28], -v[23:24], v[25:26], 1.0
	v_fma_f64 v[25:26], v[25:26], v[27:28], v[25:26]
	v_div_scale_f64 v[27:28], vcc, s[0:1], v[21:22], s[0:1]
	v_mul_f64 v[29:30], v[27:28], v[25:26]
	v_fma_f64 v[23:24], -v[23:24], v[29:30], v[27:28]
	s_nop 1
	v_div_fmas_f64 v[23:24], v[23:24], v[25:26], v[29:30]
	v_mov_b32_e32 v29, 0x413c25ac
	v_mov_b32_e32 v30, 0x40501457
	v_div_fixup_f64 v[23:24], v[23:24], v[21:22], s[0:1]
	v_mov_b32_e32 v21, 0x983b6b27
	v_mov_b32_e32 v22, 0x3f4a1d30
	s_mov_b32 s0, 0xb35dd1cf
	s_mov_b32 s1, 0x3fb534b0
	v_fma_f64 v[21:22], v[23:24], 0, v[21:22]
	v_fma_f64 v[29:30], v[23:24], 0, v[29:30]
	;; [unrolled: 1-line block ×3, first 2 shown]
	s_mov_b32 s0, 0x4e680b98
	s_mov_b32 s1, 0x3ff3d521
	v_fma_f64 v[21:22], v[23:24], v[21:22], s[0:1]
	s_mov_b32 s0, 0xe97a0956
	s_mov_b32 s1, 0x4015c9fb
	v_fma_f64 v[21:22], v[23:24], v[21:22], s[0:1]
	;; [unrolled: 3-line block ×4, first 2 shown]
	v_mov_b32_e32 v21, 0xce039737
	v_mov_b32_e32 v22, 0x3f4e4a80
	v_fma_f64 v[21:22], v[23:24], 0, v[21:22]
	s_mov_b32 s0, 0xab5454e3
	s_mov_b32 s1, 0x3fb5ebc5
	v_fma_f64 v[21:22], v[23:24], v[21:22], s[0:1]
	s_mov_b32 s0, 0xc9b3069f
	s_mov_b32 s1, 0x3ff40e72
	;; [unrolled: 3-line block ×6, first 2 shown]
	v_fma_f64 v[27:28], v[23:24], v[21:22], 1.0
	v_mov_b32_e32 v21, 0x38a5384a
	v_mov_b32_e32 v22, 0xbf874742
	v_fma_f64 v[21:22], v[23:24], 0, v[21:22]
	v_fma_f64 v[21:22], v[23:24], v[21:22], s[0:1]
	s_mov_b32 s0, 0xf50e2c0c
	s_mov_b32 s1, 0xc0338dcf
	v_fma_f64 v[21:22], v[23:24], v[21:22], s[0:1]
	s_mov_b32 s0, 0x5a6de8c4
	s_mov_b32 s1, 0xc0574d2f
	;; [unrolled: 3-line block ×12, first 2 shown]
	v_fma_f64 v[29:30], v[23:24], v[29:30], s[0:1]
	v_fma_f64 v[23:24], v[23:24], v[25:26], 1.0
	v_div_scale_f64 v[25:26], s[0:1], v[27:28], v[27:28], v[23:24]
	s_mov_b32 s0, 0x9037ab78
	s_mov_b32 s1, 0x3e21eeb6
	v_rcp_f64_e32 v[32:33], v[25:26]
	v_fma_f64 v[34:35], -v[25:26], v[32:33], 1.0
	v_fma_f64 v[32:33], v[32:33], v[34:35], v[32:33]
	v_fma_f64 v[34:35], -v[25:26], v[32:33], 1.0
	v_fma_f64 v[32:33], v[32:33], v[34:35], v[32:33]
	v_div_scale_f64 v[34:35], vcc, v[23:24], v[27:28], v[23:24]
	v_mul_f64 v[36:37], v[34:35], v[32:33]
	v_fma_f64 v[25:26], -v[25:26], v[36:37], v[34:35]
	s_nop 1
	v_div_fmas_f64 v[25:26], v[25:26], v[32:33], v[36:37]
	v_mul_f64 v[32:33], v[17:18], v[17:18]
	v_mul_f64 v[36:37], v[32:33], v[32:33]
	v_div_fixup_f64 v[23:24], v[25:26], v[27:28], v[23:24]
	v_mul_f64 v[25:26], v[32:33], 0.5
	v_add_f64 v[27:28], -v[25:26], 1.0
	v_add_f64 v[34:35], -v[27:28], 1.0
	v_add_f64 v[34:35], v[34:35], -v[25:26]
	v_mov_b32_e32 v26, s1
	v_mov_b32_e32 v25, s0
	v_fma_f64 v[38:39], v[32:33], s[8:9], v[25:26]
	s_mov_b32 s0, 0xb42fdfa7
	s_mov_b32 s1, 0xbe5ae600
	v_fma_f64 v[34:35], v[17:18], -v[19:20], v[34:35]
	v_fma_f64 v[38:39], v[32:33], v[38:39], s[10:11]
	v_fma_f64 v[38:39], v[32:33], v[38:39], s[12:13]
	;; [unrolled: 1-line block ×5, first 2 shown]
	v_mul_f64 v[38:39], v[17:18], -v[32:33]
	v_add_f64 v[34:35], v[27:28], v[34:35]
	v_mov_b32_e32 v28, s1
	v_mov_b32_e32 v27, s0
	v_fma_f64 v[36:37], v[32:33], s[18:19], v[27:28]
	s_movk_i32 s0, 0x1f8
	v_cmp_class_f64_e64 s[0:1], v[15:16], s0
	v_fma_f64 v[36:37], v[32:33], v[36:37], s[20:21]
	v_fma_f64 v[36:37], v[32:33], v[36:37], s[22:23]
	;; [unrolled: 1-line block ×4, first 2 shown]
	v_fma_f64 v[19:20], v[32:33], v[36:37], -v[19:20]
	v_fma_f64 v[19:20], v[38:39], s[26:27], v[19:20]
	v_add_f64 v[17:18], v[17:18], -v[19:20]
	v_and_b32_e32 v19, 1, v31
	v_cmp_eq_u32_e32 vcc, 0, v19
	v_lshlrev_b32_e32 v19, 30, v31
	v_xor_b32_e32 v19, v19, v16
	v_and_b32_e32 v19, 0x80000000, v19
	v_cndmask_b32_e32 v17, v34, v17, vcc
	v_cndmask_b32_e32 v18, v35, v18, vcc
	v_xor_b32_e32 v18, v18, v19
	v_cndmask_b32_e64 v15, 0, v17, s[0:1]
	v_mov_b32_e32 v17, 0x7ff80000
	v_cndmask_b32_e64 v16, v17, v18, s[0:1]
	v_div_scale_f64 v[18:19], s[30:31], v[11:12], v[11:12], s[28:29]
	v_rcp_f64_e32 v[31:32], v[18:19]
	v_fma_f64 v[33:34], -v[18:19], v[31:32], 1.0
	v_fma_f64 v[31:32], v[31:32], v[33:34], v[31:32]
	v_fma_f64 v[33:34], -v[18:19], v[31:32], 1.0
	v_fma_f64 v[31:32], v[31:32], v[33:34], v[31:32]
	v_div_scale_f64 v[33:34], vcc, s[28:29], v[11:12], s[28:29]
	v_mul_f64 v[35:36], v[33:34], v[31:32]
	v_fma_f64 v[18:19], -v[18:19], v[35:36], v[33:34]
	s_nop 1
	v_div_fmas_f64 v[18:19], v[18:19], v[31:32], v[35:36]
	v_div_fixup_f64 v[18:19], v[18:19], v[11:12], s[28:29]
	v_div_scale_f64 v[31:32], s[28:29], v[29:30], v[29:30], v[21:22]
	v_rcp_f64_e32 v[33:34], v[31:32]
	v_fma_f64 v[35:36], -v[31:32], v[33:34], 1.0
	v_fma_f64 v[33:34], v[33:34], v[35:36], v[33:34]
	v_fma_f64 v[35:36], -v[31:32], v[33:34], 1.0
	v_fma_f64 v[33:34], v[33:34], v[35:36], v[33:34]
	v_div_scale_f64 v[35:36], vcc, v[21:22], v[29:30], v[21:22]
	v_mul_f64 v[37:38], v[35:36], v[33:34]
	v_fma_f64 v[31:32], -v[31:32], v[37:38], v[35:36]
	s_nop 1
	v_div_fmas_f64 v[31:32], v[31:32], v[33:34], v[37:38]
	v_div_fixup_f64 v[20:21], v[31:32], v[29:30], v[21:22]
	v_mul_f64 v[18:19], v[18:19], v[20:21]
	v_mul_f64 v[20:21], v[9:10], v[9:10]
	v_mul_f64 v[29:30], v[20:21], 0.5
	v_fma_f64 v[25:26], v[20:21], s[8:9], v[25:26]
	v_fma_f64 v[27:28], v[20:21], s[18:19], v[27:28]
	v_add_f64 v[31:32], -v[29:30], 1.0
	v_fma_f64 v[25:26], v[20:21], v[25:26], s[10:11]
	v_fma_f64 v[27:28], v[20:21], v[27:28], s[20:21]
	v_add_f64 v[33:34], -v[31:32], 1.0
	v_fma_f64 v[25:26], v[20:21], v[25:26], s[12:13]
	v_fma_f64 v[27:28], v[20:21], v[27:28], s[22:23]
	v_add_f64 v[29:30], v[33:34], -v[29:30]
	v_fma_f64 v[25:26], v[20:21], v[25:26], s[14:15]
	v_mul_f64 v[33:34], v[20:21], v[20:21]
	v_fma_f64 v[27:28], v[20:21], v[27:28], s[24:25]
	v_fma_f64 v[29:30], v[9:10], -v[13:14], v[29:30]
	v_fma_f64 v[25:26], v[20:21], v[25:26], s[16:17]
	v_fma_f64 v[25:26], v[33:34], v[25:26], v[29:30]
	v_mul_f64 v[29:30], v[9:10], -v[20:21]
	v_add_f64 v[25:26], v[31:32], v[25:26]
	v_mul_f64 v[31:32], v[13:14], 0.5
	v_fma_f64 v[27:28], v[29:30], v[27:28], v[31:32]
	v_fma_f64 v[13:14], v[20:21], v[27:28], -v[13:14]
	v_fma_f64 v[13:14], v[29:30], s[26:27], v[13:14]
	v_add_f64 v[9:10], v[9:10], -v[13:14]
	v_and_b32_e32 v13, 1, v4
	v_cmp_eq_u32_e32 vcc, 0, v13
	v_lshlrev_b32_e32 v4, 30, v4
	v_and_b32_e32 v4, 0x80000000, v4
	v_xor_b32_e32 v10, 0x80000000, v10
	v_cndmask_b32_e32 v10, v10, v26, vcc
	v_cndmask_b32_e32 v9, v9, v25, vcc
	v_xor_b32_e32 v4, v10, v4
	v_cndmask_b32_e64 v9, 0, v9, s[0:1]
	v_cndmask_b32_e64 v10, v17, v4, s[0:1]
	v_mul_f64 v[9:10], v[18:19], v[9:10]
	s_mov_b32 s0, 0x33d43651
	s_mov_b32 s1, 0x3fe98845
	v_mov_b32_e32 v4, 0x100
	v_fma_f64 v[9:10], v[23:24], v[15:16], v[9:10]
	v_mul_f64 v[9:10], v[9:10], s[0:1]
	s_mov_b32 s0, 0
	s_brev_b32 s1, 8
	v_cmp_gt_f64_e32 vcc, s[0:1], v[11:12]
	v_cndmask_b32_e32 v4, 0, v4, vcc
	v_ldexp_f64 v[11:12], v[11:12], v4
	v_mov_b32_e32 v4, 0xffffff80
	v_cndmask_b32_e32 v4, 0, v4, vcc
	v_rsq_f64_e32 v[13:14], v[11:12]
	v_mul_f64 v[15:16], v[11:12], v[13:14]
	v_mul_f64 v[13:14], v[13:14], 0.5
	v_fma_f64 v[17:18], -v[13:14], v[15:16], 0.5
	v_fma_f64 v[15:16], v[15:16], v[17:18], v[15:16]
	v_fma_f64 v[13:14], v[13:14], v[17:18], v[13:14]
	v_fma_f64 v[19:20], -v[15:16], v[15:16], v[11:12]
	v_fma_f64 v[15:16], v[19:20], v[13:14], v[15:16]
	v_fma_f64 v[17:18], -v[15:16], v[15:16], v[11:12]
	v_fma_f64 v[13:14], v[17:18], v[13:14], v[15:16]
	v_ldexp_f64 v[13:14], v[13:14], v4
	v_mov_b32_e32 v4, 0x260
	v_cmp_class_f64_e32 vcc, v[11:12], v4
	v_cndmask_b32_e32 v12, v14, v12, vcc
	v_cndmask_b32_e32 v11, v13, v11, vcc
	v_div_scale_f64 v[13:14], s[0:1], v[11:12], v[11:12], v[9:10]
	v_rcp_f64_e32 v[15:16], v[13:14]
	v_fma_f64 v[17:18], -v[13:14], v[15:16], 1.0
	v_fma_f64 v[15:16], v[15:16], v[17:18], v[15:16]
	v_fma_f64 v[17:18], -v[13:14], v[15:16], 1.0
	v_fma_f64 v[15:16], v[15:16], v[17:18], v[15:16]
	v_div_scale_f64 v[17:18], vcc, v[9:10], v[11:12], v[9:10]
	v_mul_f64 v[19:20], v[17:18], v[15:16]
	v_fma_f64 v[13:14], -v[13:14], v[19:20], v[17:18]
	s_nop 1
	v_div_fmas_f64 v[13:14], v[13:14], v[15:16], v[19:20]
	v_div_fixup_f64 v[9:10], v[13:14], v[11:12], v[9:10]
.LBB7_112:
	s_or_b64 exec, exec, s[2:3]
	global_load_dwordx2 v[13:14], v8, s[6:7]
	s_mov_b32 s0, 0
	s_mov_b32 s1, 0x40140000
                                        ; implicit-def: $vgpr11_vgpr12
	s_waitcnt vmcnt(0)
	v_cmp_ge_f64_e32 vcc, s[0:1], v[13:14]
	s_and_saveexec_b64 s[0:1], vcc
	s_xor_b64 s[0:1], exec, s[0:1]
	s_cbranch_execz .LBB7_122
; %bb.113:
	v_cmp_neq_f64_e32 vcc, 0, v[13:14]
	v_mov_b32_e32 v11, 0
	v_mov_b32_e32 v12, 0xfff00000
	s_and_saveexec_b64 s[2:3], vcc
	s_cbranch_execz .LBB7_121
; %bb.114:
	v_cmp_ngt_f64_e32 vcc, 0, v[13:14]
	v_mov_b32_e32 v11, 0
	v_mov_b32_e32 v12, 0x7ff80000
	s_and_saveexec_b64 s[8:9], vcc
	s_cbranch_execz .LBB7_120
; %bb.115:
	v_mul_f64 v[11:12], v[13:14], v[13:14]
	s_mov_b32 s10, 0x88e368f1
	s_mov_b32 s11, 0x3ee4f8b5
	v_cmp_ngt_f64_e32 vcc, s[10:11], v[13:14]
                                        ; implicit-def: $vgpr15_vgpr16
	v_mul_f64 v[17:18], v[11:12], 0
	s_and_saveexec_b64 s[10:11], vcc
	s_xor_b64 s[10:11], exec, s[10:11]
	s_cbranch_execz .LBB7_117
; %bb.116:
	s_mov_b32 s12, 0xa696b78c
	s_mov_b32 s13, 0x407f3902
	v_add_f64 v[15:16], v[17:18], s[12:13]
	s_mov_b32 s12, 0x36a21a67
	s_mov_b32 s13, 0x410536cb
	;; [unrolled: 1-line block ×7, first 2 shown]
	v_fma_f64 v[15:16], v[11:12], v[15:16], s[12:13]
	s_mov_b32 s12, 0x2eac0634
	s_mov_b32 s13, 0x41871934
	;; [unrolled: 1-line block ×3, first 2 shown]
	v_fma_f64 v[15:16], v[11:12], v[15:16], s[12:13]
	s_mov_b32 s12, 0xad1c8325
	s_mov_b32 s13, 0xc1f1dc53
	v_add_f64 v[19:20], v[17:18], s[12:13]
	s_mov_b32 s12, 0xe0d900f7
	s_mov_b32 s13, 0xc2ec5614
	v_fma_f64 v[15:16], v[11:12], v[15:16], s[16:17]
	s_mov_b32 s16, 0x72182e46
	s_mov_b32 s17, 0x427ebeb3
	v_fma_f64 v[19:20], v[11:12], v[19:20], s[14:15]
	s_mov_b32 s14, 0x80462bbb
	s_mov_b32 s15, 0xc01721fb
	v_add_f64 v[21:22], v[11:12], s[14:15]
	s_mov_b32 s14, 0x69ff5fb4
	v_fma_f64 v[15:16], v[11:12], v[15:16], s[16:17]
	s_mov_b32 s16, 0xa621dd6f
	s_mov_b32 s17, 0xc03e78a4
	v_add_f64 v[23:24], v[11:12], s[16:17]
	v_fma_f64 v[19:20], v[11:12], v[19:20], s[12:13]
	s_mov_b32 s12, 0x7e7b2e9c
	s_mov_b32 s13, 0x435c4141
	;; [unrolled: 1-line block ×3, first 2 shown]
	v_fma_f64 v[15:16], v[11:12], v[15:16], s[18:19]
	v_mul_f64 v[21:22], v[21:22], v[23:24]
	v_fma_f64 v[19:20], v[11:12], v[19:20], s[14:15]
	v_fma_f64 v[15:16], v[11:12], v[15:16], s[12:13]
	s_mov_b32 s12, 0xc7b662cc
	s_mov_b32 s13, 0x43b7be34
	v_mul_f64 v[19:20], v[21:22], v[19:20]
	v_fma_f64 v[15:16], v[11:12], v[15:16], s[12:13]
	v_div_scale_f64 v[21:22], s[12:13], v[15:16], v[15:16], v[19:20]
	v_div_scale_f64 v[27:28], vcc, v[19:20], v[15:16], v[19:20]
	v_rcp_f64_e32 v[23:24], v[21:22]
	v_fma_f64 v[25:26], -v[21:22], v[23:24], 1.0
	v_fma_f64 v[23:24], v[23:24], v[25:26], v[23:24]
	v_fma_f64 v[25:26], -v[21:22], v[23:24], 1.0
	v_fma_f64 v[23:24], v[23:24], v[25:26], v[23:24]
	v_mul_f64 v[25:26], v[27:28], v[23:24]
	v_fma_f64 v[21:22], -v[21:22], v[25:26], v[27:28]
	v_div_fmas_f64 v[21:22], v[21:22], v[23:24], v[25:26]
	v_div_fixup_f64 v[15:16], v[21:22], v[15:16], v[19:20]
.LBB7_117:
	s_andn2_saveexec_b64 s[10:11], s[10:11]
	s_cbranch_execz .LBB7_119
; %bb.118:
	s_mov_b32 s12, 0
	s_mov_b32 s13, 0xbfd00000
	v_fma_f64 v[15:16], v[11:12], s[12:13], 1.0
.LBB7_119:
	s_or_b64 exec, exec, s[10:11]
	v_frexp_mant_f64_e32 v[19:20], v[13:14]
	s_mov_b32 s11, 0x3fe55555
	s_mov_b32 s10, 0x55555555
	;; [unrolled: 1-line block ×7, first 2 shown]
	v_cmp_gt_f64_e32 vcc, s[10:11], v[19:20]
	s_mov_b32 s23, 0x3fcc71c0
	s_mov_b32 s14, 0x32e48896
	s_mov_b32 s15, 0xc16bf81f
	s_mov_b32 s10, 0x55555780
	s_mov_b32 s18, 0xe1d6bd2b
	s_mov_b32 s19, 0xc26c957b
	s_mov_b32 s20, 0x3cc3ac2d
	v_cndmask_b32_e64 v4, 0, 1, vcc
	v_ldexp_f64 v[19:20], v[19:20], v4
	v_frexp_exp_i32_f64_e32 v4, v[13:14]
	s_mov_b32 s21, 0x42d3ea72
	s_mov_b32 s24, 0x660b4003
	;; [unrolled: 1-line block ×3, first 2 shown]
	v_add_f64 v[21:22], v[19:20], 1.0
	v_add_f64 v[27:28], v[19:20], -1.0
	v_subbrev_co_u32_e32 v4, vcc, 0, v4, vcc
	v_rcp_f64_e32 v[23:24], v[21:22]
	v_add_f64 v[29:30], v[21:22], -1.0
	v_add_f64 v[19:20], v[19:20], -v[29:30]
	v_fma_f64 v[25:26], -v[21:22], v[23:24], 1.0
	v_fma_f64 v[23:24], v[25:26], v[23:24], v[23:24]
	v_fma_f64 v[25:26], -v[21:22], v[23:24], 1.0
	v_fma_f64 v[23:24], v[25:26], v[23:24], v[23:24]
	v_mul_f64 v[25:26], v[27:28], v[23:24]
	v_mul_f64 v[31:32], v[21:22], v[25:26]
	v_fma_f64 v[21:22], v[25:26], v[21:22], -v[31:32]
	v_fma_f64 v[19:20], v[25:26], v[19:20], v[21:22]
	v_add_f64 v[21:22], v[31:32], v[19:20]
	v_add_f64 v[29:30], v[27:28], -v[21:22]
	v_add_f64 v[31:32], v[21:22], -v[31:32]
	;; [unrolled: 1-line block ×5, first 2 shown]
	v_mov_b32_e32 v27, 0x6b47b09a
	v_mov_b32_e32 v28, 0x3fc38538
	v_add_f64 v[19:20], v[19:20], v[21:22]
	v_add_f64 v[19:20], v[29:30], v[19:20]
	v_mul_f64 v[19:20], v[23:24], v[19:20]
	v_add_f64 v[21:22], v[25:26], v[19:20]
	v_mul_f64 v[23:24], v[21:22], v[21:22]
	v_fma_f64 v[27:28], v[23:24], s[12:13], v[27:28]
	s_mov_b32 s12, 0xe896898f
	s_mov_b32 s13, 0x40ce7437
	v_add_f64 v[29:30], v[17:18], s[12:13]
	s_mov_b32 s12, 0x9b27acf1
	s_mov_b32 s13, 0x3fd24924
	v_mul_f64 v[31:32], v[21:22], v[23:24]
	v_fma_f64 v[27:28], v[23:24], v[27:28], s[16:17]
	s_mov_b32 s16, 0xf0284cdd
	s_mov_b32 s17, 0x41f43f78
	v_fma_f64 v[29:30], v[11:12], v[29:30], s[14:15]
	s_mov_b32 s14, 0x5164d101
	s_mov_b32 s15, 0x41b00763
	;; [unrolled: 3-line block ×3, first 2 shown]
	v_fma_f64 v[29:30], v[11:12], v[29:30], s[16:17]
	v_fma_f64 v[27:28], v[23:24], v[27:28], s[12:13]
	s_mov_b32 s12, 0x576dfcb6
	s_mov_b32 s13, 0x40904522
	v_add_f64 v[17:18], v[17:18], s[12:13]
	s_mov_b32 s12, 0x998ef7b6
	s_mov_b32 s13, 0x3fd99999
	v_fma_f64 v[27:28], v[23:24], v[27:28], s[12:13]
	s_mov_b32 s12, 0xa907bc0c
	s_mov_b32 s13, 0x41231b76
	v_fma_f64 v[17:18], v[11:12], v[17:18], s[12:13]
	;; [unrolled: 3-line block ×3, first 2 shown]
	v_fma_f64 v[27:28], v[11:12], v[29:30], s[18:19]
	v_ldexp_f64 v[29:30], v[21:22], 1
	v_fma_f64 v[17:18], v[11:12], v[17:18], s[14:15]
	s_mov_b32 s10, 0x2b8664bc
	s_mov_b32 s11, 0x42341ddb
	v_add_f64 v[21:22], v[21:22], -v[25:26]
	s_mov_b32 s14, 0xdfeb596d
	v_mul_f64 v[23:24], v[31:32], v[23:24]
	s_mov_b32 s15, 0x43268910
	v_fma_f64 v[13:14], v[11:12], v[17:18], s[10:11]
	v_fma_f64 v[17:18], v[11:12], v[27:28], s[20:21]
	v_cvt_f64_i32_e32 v[27:28], v4
	s_mov_b32 s10, 0xfefa39ef
	s_mov_b32 s11, 0x3fe62e42
	v_add_f64 v[25:26], v[29:30], v[23:24]
	v_mul_f64 v[31:32], v[27:28], s[10:11]
	v_add_f64 v[19:20], v[19:20], -v[21:22]
	v_fma_f64 v[13:14], v[11:12], v[13:14], s[12:13]
	v_fma_f64 v[17:18], v[11:12], v[17:18], s[22:23]
	s_mov_b32 s12, 0xbcf9b5d0
	s_mov_b32 s13, 0x438bd25f
	v_add_f64 v[21:22], v[25:26], -v[29:30]
	v_fma_f64 v[29:30], v[27:28], s[10:11], -v[31:32]
	v_ldexp_f64 v[19:20], v[19:20], 1
	v_fma_f64 v[13:14], v[11:12], v[13:14], s[14:15]
	v_fma_f64 v[17:18], v[11:12], v[17:18], s[24:25]
	s_mov_b32 s10, 0x5906367b
	s_mov_b32 s11, 0xc3506d4b
	v_add_f64 v[21:22], v[23:24], -v[21:22]
	v_fma_f64 v[13:14], v[11:12], v[13:14], s[12:13]
	v_fma_f64 v[11:12], v[11:12], v[17:18], s[10:11]
	s_mov_b32 s10, 0x3b39803f
	s_mov_b32 s11, 0x3c7abc9e
	v_fma_f64 v[17:18], v[27:28], s[10:11], v[29:30]
	v_add_f64 v[19:20], v[19:20], v[21:22]
	v_div_scale_f64 v[21:22], s[10:11], v[13:14], v[13:14], v[11:12]
	s_mov_b32 s10, 0x6dc9c883
	v_add_f64 v[23:24], v[31:32], v[17:18]
	v_add_f64 v[27:28], v[25:26], v[19:20]
	s_mov_b32 s11, 0x3fe45f30
	v_add_f64 v[31:32], v[23:24], -v[31:32]
	v_add_f64 v[29:30], v[23:24], v[27:28]
	v_add_f64 v[25:26], v[27:28], -v[25:26]
	v_rcp_f64_e32 v[33:34], v[21:22]
	v_add_f64 v[17:18], v[17:18], -v[31:32]
	v_add_f64 v[35:36], v[29:30], -v[23:24]
	;; [unrolled: 1-line block ×5, first 2 shown]
	v_add_f64 v[31:32], v[17:18], v[19:20]
	v_fma_f64 v[39:40], -v[21:22], v[33:34], 1.0
	v_add_f64 v[23:24], v[23:24], -v[37:38]
	v_add_f64 v[35:36], v[31:32], -v[17:18]
	v_fma_f64 v[27:28], v[33:34], v[39:40], v[33:34]
	v_div_scale_f64 v[33:34], vcc, v[11:12], v[13:14], v[11:12]
	v_add_f64 v[23:24], v[25:26], v[23:24]
	v_add_f64 v[19:20], v[19:20], -v[35:36]
	v_fma_f64 v[25:26], -v[21:22], v[27:28], 1.0
	v_add_f64 v[23:24], v[31:32], v[23:24]
	v_fma_f64 v[25:26], v[27:28], v[25:26], v[27:28]
	v_add_f64 v[27:28], v[31:32], -v[35:36]
	v_add_f64 v[31:32], v[29:30], v[23:24]
	v_mul_f64 v[37:38], v[33:34], v[25:26]
	v_add_f64 v[17:18], v[17:18], -v[27:28]
	v_add_f64 v[27:28], v[31:32], -v[29:30]
	v_fma_f64 v[21:22], -v[21:22], v[37:38], v[33:34]
	v_add_f64 v[17:18], v[19:20], v[17:18]
	v_add_f64 v[19:20], v[23:24], -v[27:28]
	v_div_fmas_f64 v[21:22], v[21:22], v[25:26], v[37:38]
	v_add_f64 v[17:18], v[17:18], v[19:20]
	v_add_f64 v[17:18], v[31:32], v[17:18]
	v_div_fixup_f64 v[11:12], v[21:22], v[13:14], v[11:12]
	v_mul_f64 v[13:14], v[17:18], s[10:11]
	v_fma_f64 v[11:12], v[13:14], v[15:16], v[11:12]
.LBB7_120:
	s_or_b64 exec, exec, s[8:9]
.LBB7_121:
	s_or_b64 exec, exec, s[2:3]
                                        ; implicit-def: $vgpr13_vgpr14
.LBB7_122:
	s_andn2_saveexec_b64 s[2:3], s[0:1]
	s_cbranch_execz .LBB7_132
; %bb.123:
	s_mov_b32 s11, 0xbfe921fb
	s_mov_b32 s10, 0x54442d18
	v_add_f64 v[17:18], v[13:14], s[10:11]
	s_mov_b32 s0, 0
	s_mov_b32 s1, 0x41d00000
                                        ; implicit-def: $vgpr8
                                        ; implicit-def: $vgpr19_vgpr20
                                        ; implicit-def: $vgpr21_vgpr22
	v_trig_preop_f64 v[27:28], |v[17:18]|, 0
	v_trig_preop_f64 v[25:26], |v[17:18]|, 1
	;; [unrolled: 1-line block ×3, first 2 shown]
	v_cmp_nlt_f64_e64 s[8:9], |v[17:18]|, s[0:1]
	s_and_saveexec_b64 s[0:1], s[8:9]
	s_xor_b64 s[12:13], exec, s[0:1]
	s_cbranch_execz .LBB7_125
; %bb.124:
	s_mov_b32 s0, 0
	s_mov_b32 s1, 0x7b000000
	s_movk_i32 s11, 0xff80
	v_ldexp_f64 v[11:12], |v[17:18]|, s11
	v_cmp_ge_f64_e64 vcc, |v[17:18]|, s[0:1]
	v_and_b32_e32 v4, 0x7fffffff, v18
	s_mov_b32 s0, 0
	s_mov_b32 s1, 0x7ff00000
	v_mov_b32_e32 v41, 0
	s_mov_b32 s11, 0x3ff921fb
	v_cndmask_b32_e32 v12, v4, v12, vcc
	v_cndmask_b32_e32 v11, v17, v11, vcc
	v_mul_f64 v[15:16], v[27:28], v[11:12]
	v_mul_f64 v[19:20], v[25:26], v[11:12]
	;; [unrolled: 1-line block ×3, first 2 shown]
	v_mov_b32_e32 v4, 0x40100000
	v_fma_f64 v[21:22], v[27:28], v[11:12], -v[15:16]
	v_fma_f64 v[37:38], v[25:26], v[11:12], -v[19:20]
	v_fma_f64 v[11:12], v[23:24], v[11:12], -v[35:36]
	v_add_f64 v[29:30], v[19:20], v[21:22]
	v_add_f64 v[31:32], v[29:30], -v[19:20]
	v_add_f64 v[39:40], v[15:16], v[29:30]
	v_add_f64 v[33:34], v[29:30], -v[31:32]
	v_add_f64 v[21:22], v[21:22], -v[31:32]
	v_add_f64 v[31:32], v[35:36], v[37:38]
	v_add_f64 v[15:16], v[39:40], -v[15:16]
	v_add_f64 v[19:20], v[19:20], -v[33:34]
	v_ldexp_f64 v[33:34], v[39:40], -2
	v_add_f64 v[43:44], v[31:32], -v[35:36]
	v_add_f64 v[15:16], v[29:30], -v[15:16]
	v_add_f64 v[19:20], v[21:22], v[19:20]
	v_fract_f64_e32 v[21:22], v[33:34]
	v_cmp_neq_f64_e64 vcc, |v[33:34]|, s[0:1]
	v_add_f64 v[37:38], v[37:38], -v[43:44]
	v_add_f64 v[29:30], v[31:32], v[19:20]
	v_ldexp_f64 v[21:22], v[21:22], 2
	v_add_f64 v[33:34], v[15:16], v[29:30]
	v_cndmask_b32_e32 v22, 0, v22, vcc
	v_cndmask_b32_e32 v21, 0, v21, vcc
	v_add_f64 v[45:46], v[29:30], -v[31:32]
	v_add_f64 v[39:40], v[33:34], v[21:22]
	v_add_f64 v[15:16], v[33:34], -v[15:16]
	v_add_f64 v[47:48], v[29:30], -v[45:46]
	;; [unrolled: 1-line block ×3, first 2 shown]
	v_cmp_gt_f64_e32 vcc, 0, v[39:40]
	v_add_f64 v[39:40], v[31:32], -v[43:44]
	v_add_f64 v[15:16], v[29:30], -v[15:16]
	;; [unrolled: 1-line block ×3, first 2 shown]
	v_cndmask_b32_e32 v42, 0, v4, vcc
	v_add_f64 v[21:22], v[21:22], v[41:42]
	v_add_f64 v[39:40], v[35:36], -v[39:40]
	v_add_f64 v[19:20], v[19:20], v[31:32]
	v_add_f64 v[49:50], v[33:34], v[21:22]
	;; [unrolled: 1-line block ×3, first 2 shown]
	v_cvt_i32_f64_e32 v4, v[49:50]
	v_add_f64 v[19:20], v[37:38], v[19:20]
	v_cvt_f64_i32_e32 v[42:43], v4
	v_add_f64 v[21:22], v[21:22], -v[42:43]
	v_add_f64 v[11:12], v[11:12], v[19:20]
	v_add_f64 v[31:32], v[33:34], v[21:22]
	;; [unrolled: 1-line block ×3, first 2 shown]
	v_add_f64 v[19:20], v[31:32], -v[21:22]
	v_cmp_le_f64_e32 vcc, 0.5, v[31:32]
	v_add_f64 v[15:16], v[33:34], -v[19:20]
	v_mov_b32_e32 v19, 0x3ff00000
	v_cndmask_b32_e32 v42, 0, v19, vcc
	v_addc_co_u32_e64 v8, s[0:1], 0, v4, vcc
	s_mov_b32 s0, 0x33145c07
	s_mov_b32 s1, 0x3c91a626
	v_add_f64 v[11:12], v[11:12], v[15:16]
	v_add_f64 v[15:16], v[31:32], -v[41:42]
	v_add_f64 v[19:20], v[15:16], v[11:12]
	v_mul_f64 v[21:22], v[19:20], s[10:11]
	v_add_f64 v[15:16], v[19:20], -v[15:16]
	v_fma_f64 v[29:30], v[19:20], s[10:11], -v[21:22]
	v_add_f64 v[11:12], v[11:12], -v[15:16]
	v_fma_f64 v[15:16], v[19:20], s[0:1], v[29:30]
	v_fma_f64 v[11:12], v[11:12], s[10:11], v[15:16]
	v_add_f64 v[19:20], v[21:22], v[11:12]
	v_add_f64 v[15:16], v[19:20], -v[21:22]
	v_add_f64 v[21:22], v[11:12], -v[15:16]
	s_andn2_saveexec_b64 s[0:1], s[12:13]
	s_cbranch_execz .LBB7_127
	s_branch .LBB7_126
.LBB7_125:
	s_andn2_saveexec_b64 s[0:1], s[12:13]
	s_cbranch_execz .LBB7_127
.LBB7_126:
	s_mov_b32 s10, 0x6dc9c883
	s_mov_b32 s11, 0x3fe45f30
	v_mul_f64 v[11:12], |v[17:18]|, s[10:11]
	s_mov_b32 s10, 0x54442d18
	s_mov_b32 s11, 0xbff921fb
	;; [unrolled: 1-line block ×4, first 2 shown]
	v_rndne_f64_e32 v[11:12], v[11:12]
	v_fma_f64 v[15:16], v[11:12], s[10:11], |v[17:18]|
	v_mul_f64 v[19:20], v[11:12], s[12:13]
	s_mov_b32 s10, 0x252049c0
	s_mov_b32 s11, 0xb97b839a
	v_cvt_i32_f64_e32 v8, v[11:12]
	v_add_f64 v[21:22], v[15:16], v[19:20]
	v_add_f64 v[29:30], v[15:16], -v[21:22]
	v_fma_f64 v[15:16], v[11:12], s[12:13], v[15:16]
	s_mov_b32 s13, 0x3c91a626
	v_add_f64 v[29:30], v[29:30], v[19:20]
	v_add_f64 v[21:22], v[21:22], -v[15:16]
	v_fma_f64 v[19:20], v[11:12], s[12:13], v[19:20]
	v_add_f64 v[21:22], v[21:22], v[29:30]
	v_add_f64 v[19:20], v[21:22], -v[19:20]
	v_fma_f64 v[21:22], v[11:12], s[10:11], v[19:20]
	v_add_f64 v[19:20], v[15:16], v[21:22]
	v_add_f64 v[15:16], v[19:20], -v[15:16]
	v_add_f64 v[21:22], v[21:22], -v[15:16]
.LBB7_127:
	s_or_b64 exec, exec, s[0:1]
                                        ; implicit-def: $vgpr4
                                        ; implicit-def: $vgpr11_vgpr12
                                        ; implicit-def: $vgpr15_vgpr16
	s_and_saveexec_b64 s[0:1], s[8:9]
	s_xor_b64 s[8:9], exec, s[0:1]
	s_cbranch_execz .LBB7_129
; %bb.128:
	s_mov_b32 s0, 0
	s_mov_b32 s1, 0x7b000000
	s_movk_i32 s10, 0xff80
	v_ldexp_f64 v[11:12], |v[17:18]|, s10
	v_cmp_ge_f64_e64 vcc, |v[17:18]|, s[0:1]
	v_and_b32_e32 v4, 0x7fffffff, v18
	s_mov_b32 s0, 0
	s_mov_b32 s1, 0x7ff00000
	v_mov_b32_e32 v41, 0
	s_mov_b32 s10, 0x33145c07
	s_mov_b32 s11, 0x3c91a626
	v_cndmask_b32_e32 v12, v4, v12, vcc
	v_cndmask_b32_e32 v11, v17, v11, vcc
	v_mul_f64 v[15:16], v[27:28], v[11:12]
	v_mul_f64 v[29:30], v[25:26], v[11:12]
	;; [unrolled: 1-line block ×3, first 2 shown]
	v_mov_b32_e32 v4, 0x40100000
	v_fma_f64 v[27:28], v[27:28], v[11:12], -v[15:16]
	v_fma_f64 v[25:26], v[25:26], v[11:12], -v[29:30]
	;; [unrolled: 1-line block ×3, first 2 shown]
	v_add_f64 v[31:32], v[29:30], v[27:28]
	v_add_f64 v[33:34], v[31:32], -v[29:30]
	v_add_f64 v[39:40], v[15:16], v[31:32]
	v_add_f64 v[35:36], v[31:32], -v[33:34]
	v_add_f64 v[27:28], v[27:28], -v[33:34]
	v_add_f64 v[33:34], v[37:38], v[25:26]
	v_add_f64 v[15:16], v[39:40], -v[15:16]
	v_add_f64 v[29:30], v[29:30], -v[35:36]
	v_ldexp_f64 v[35:36], v[39:40], -2
	v_add_f64 v[43:44], v[33:34], -v[37:38]
	v_add_f64 v[15:16], v[31:32], -v[15:16]
	v_add_f64 v[27:28], v[27:28], v[29:30]
	v_fract_f64_e32 v[29:30], v[35:36]
	v_cmp_neq_f64_e64 vcc, |v[35:36]|, s[0:1]
	v_add_f64 v[25:26], v[25:26], -v[43:44]
	v_add_f64 v[31:32], v[33:34], v[27:28]
	v_ldexp_f64 v[29:30], v[29:30], 2
	v_add_f64 v[35:36], v[15:16], v[31:32]
	v_cndmask_b32_e32 v30, 0, v30, vcc
	v_cndmask_b32_e32 v29, 0, v29, vcc
	v_add_f64 v[45:46], v[31:32], -v[33:34]
	v_add_f64 v[39:40], v[35:36], v[29:30]
	v_add_f64 v[15:16], v[35:36], -v[15:16]
	v_add_f64 v[47:48], v[31:32], -v[45:46]
	;; [unrolled: 1-line block ×3, first 2 shown]
	v_cmp_gt_f64_e32 vcc, 0, v[39:40]
	v_add_f64 v[39:40], v[33:34], -v[43:44]
	v_add_f64 v[15:16], v[31:32], -v[15:16]
	;; [unrolled: 1-line block ×3, first 2 shown]
	v_cndmask_b32_e32 v42, 0, v4, vcc
	v_add_f64 v[29:30], v[29:30], v[41:42]
	v_add_f64 v[39:40], v[37:38], -v[39:40]
	v_add_f64 v[27:28], v[27:28], v[33:34]
	v_add_f64 v[49:50], v[35:36], v[29:30]
	;; [unrolled: 1-line block ×3, first 2 shown]
	v_cvt_i32_f64_e32 v4, v[49:50]
	v_add_f64 v[23:24], v[25:26], v[27:28]
	v_cvt_f64_i32_e32 v[42:43], v4
	v_add_f64 v[29:30], v[29:30], -v[42:43]
	v_add_f64 v[11:12], v[11:12], v[23:24]
	v_add_f64 v[25:26], v[35:36], v[29:30]
	;; [unrolled: 1-line block ×3, first 2 shown]
	v_add_f64 v[23:24], v[25:26], -v[29:30]
	v_cmp_le_f64_e32 vcc, 0.5, v[25:26]
	v_add_f64 v[15:16], v[35:36], -v[23:24]
	v_mov_b32_e32 v23, 0x3ff00000
	v_cndmask_b32_e32 v42, 0, v23, vcc
	v_addc_co_u32_e64 v4, s[0:1], 0, v4, vcc
	s_mov_b32 s0, 0x54442d18
	s_mov_b32 s1, 0x3ff921fb
	v_add_f64 v[11:12], v[11:12], v[15:16]
	v_add_f64 v[15:16], v[25:26], -v[41:42]
	v_add_f64 v[23:24], v[15:16], v[11:12]
	v_mul_f64 v[25:26], v[23:24], s[0:1]
	v_add_f64 v[15:16], v[23:24], -v[15:16]
	v_fma_f64 v[27:28], v[23:24], s[0:1], -v[25:26]
	v_add_f64 v[11:12], v[11:12], -v[15:16]
	v_fma_f64 v[15:16], v[23:24], s[10:11], v[27:28]
	v_fma_f64 v[15:16], v[11:12], s[0:1], v[15:16]
	v_add_f64 v[11:12], v[25:26], v[15:16]
	v_add_f64 v[23:24], v[11:12], -v[25:26]
	v_add_f64 v[15:16], v[15:16], -v[23:24]
	s_andn2_saveexec_b64 s[0:1], s[8:9]
	s_cbranch_execnz .LBB7_130
	s_branch .LBB7_131
.LBB7_129:
	s_andn2_saveexec_b64 s[0:1], s[8:9]
	s_cbranch_execz .LBB7_131
.LBB7_130:
	s_mov_b32 s8, 0x6dc9c883
	s_mov_b32 s9, 0x3fe45f30
	v_mul_f64 v[11:12], |v[17:18]|, s[8:9]
	s_mov_b32 s8, 0x54442d18
	s_mov_b32 s9, 0xbff921fb
	;; [unrolled: 1-line block ×4, first 2 shown]
	v_rndne_f64_e32 v[23:24], v[11:12]
	v_fma_f64 v[11:12], v[23:24], s[8:9], |v[17:18]|
	v_mul_f64 v[15:16], v[23:24], s[10:11]
	s_mov_b32 s8, 0x252049c0
	s_mov_b32 s9, 0xb97b839a
	v_cvt_i32_f64_e32 v4, v[23:24]
	v_fma_f64 v[29:30], v[23:24], s[10:11], v[11:12]
	v_add_f64 v[25:26], v[11:12], v[15:16]
	s_mov_b32 s11, 0x3c91a626
	v_add_f64 v[27:28], v[11:12], -v[25:26]
	v_add_f64 v[25:26], v[25:26], -v[29:30]
	v_add_f64 v[11:12], v[27:28], v[15:16]
	v_fma_f64 v[15:16], v[23:24], s[10:11], v[15:16]
	v_add_f64 v[11:12], v[25:26], v[11:12]
	v_add_f64 v[11:12], v[11:12], -v[15:16]
	v_fma_f64 v[15:16], v[23:24], s[8:9], v[11:12]
	v_add_f64 v[11:12], v[29:30], v[15:16]
	v_add_f64 v[25:26], v[11:12], -v[29:30]
	v_add_f64 v[15:16], v[15:16], -v[25:26]
.LBB7_131:
	s_or_b64 exec, exec, s[0:1]
	v_mul_f64 v[23:24], v[13:14], v[13:14]
	s_mov_b32 s0, 0
	s_mov_b32 s1, 0x40390000
	;; [unrolled: 1-line block ×7, first 2 shown]
	v_div_scale_f64 v[25:26], s[8:9], v[23:24], v[23:24], s[0:1]
	s_mov_b32 s8, 0x46cc5e42
	s_mov_b32 s9, 0xbda907db
	;; [unrolled: 1-line block ×13, first 2 shown]
	v_mul_f64 v[41:42], v[21:22], 0.5
	v_rcp_f64_e32 v[27:28], v[25:26]
	s_mov_b32 s27, 0xbfc55555
	s_mov_b32 s26, s16
	;; [unrolled: 1-line block ×4, first 2 shown]
	v_fma_f64 v[29:30], -v[25:26], v[27:28], 1.0
	v_fma_f64 v[27:28], v[27:28], v[29:30], v[27:28]
	v_fma_f64 v[29:30], -v[25:26], v[27:28], 1.0
	v_fma_f64 v[27:28], v[27:28], v[29:30], v[27:28]
	v_div_scale_f64 v[29:30], vcc, s[0:1], v[23:24], s[0:1]
	v_mul_f64 v[31:32], v[29:30], v[27:28]
	v_fma_f64 v[25:26], -v[25:26], v[31:32], v[29:30]
	s_nop 1
	v_div_fmas_f64 v[25:26], v[25:26], v[27:28], v[31:32]
	v_mov_b32_e32 v31, 0x413c25ac
	v_mov_b32_e32 v32, 0x40501457
	v_div_fixup_f64 v[25:26], v[25:26], v[23:24], s[0:1]
	v_mov_b32_e32 v23, 0x983b6b27
	v_mov_b32_e32 v24, 0x3f4a1d30
	s_mov_b32 s0, 0xb35dd1cf
	s_mov_b32 s1, 0x3fb534b0
	v_fma_f64 v[23:24], v[25:26], 0, v[23:24]
	v_fma_f64 v[31:32], v[25:26], 0, v[31:32]
	;; [unrolled: 1-line block ×3, first 2 shown]
	s_mov_b32 s0, 0x4e680b98
	s_mov_b32 s1, 0x3ff3d521
	v_fma_f64 v[23:24], v[25:26], v[23:24], s[0:1]
	s_mov_b32 s0, 0xe97a0956
	s_mov_b32 s1, 0x4015c9fb
	v_fma_f64 v[23:24], v[25:26], v[23:24], s[0:1]
	;; [unrolled: 3-line block ×4, first 2 shown]
	v_mov_b32_e32 v23, 0xce039737
	v_mov_b32_e32 v24, 0x3f4e4a80
	v_fma_f64 v[23:24], v[25:26], 0, v[23:24]
	s_mov_b32 s0, 0xab5454e3
	s_mov_b32 s1, 0x3fb5ebc5
	v_fma_f64 v[23:24], v[25:26], v[23:24], s[0:1]
	s_mov_b32 s0, 0xc9b3069f
	s_mov_b32 s1, 0x3ff40e72
	;; [unrolled: 3-line block ×6, first 2 shown]
	v_fma_f64 v[29:30], v[25:26], v[23:24], 1.0
	v_mov_b32_e32 v23, 0x38a5384a
	v_mov_b32_e32 v24, 0xbf874742
	v_fma_f64 v[23:24], v[25:26], 0, v[23:24]
	v_fma_f64 v[23:24], v[25:26], v[23:24], s[0:1]
	s_mov_b32 s0, 0xf50e2c0c
	s_mov_b32 s1, 0xc0338dcf
	v_fma_f64 v[23:24], v[25:26], v[23:24], s[0:1]
	s_mov_b32 s0, 0x5a6de8c4
	s_mov_b32 s1, 0xc0574d2f
	;; [unrolled: 3-line block ×12, first 2 shown]
	v_fma_f64 v[31:32], v[25:26], v[31:32], s[0:1]
	v_fma_f64 v[25:26], v[25:26], v[27:28], 1.0
	v_div_scale_f64 v[27:28], s[0:1], v[29:30], v[29:30], v[25:26]
	s_mov_b32 s0, 0x9037ab78
	s_mov_b32 s1, 0x3e21eeb6
	v_rcp_f64_e32 v[33:34], v[27:28]
	v_fma_f64 v[35:36], -v[27:28], v[33:34], 1.0
	v_fma_f64 v[33:34], v[33:34], v[35:36], v[33:34]
	v_fma_f64 v[35:36], -v[27:28], v[33:34], 1.0
	v_fma_f64 v[33:34], v[33:34], v[35:36], v[33:34]
	v_div_scale_f64 v[35:36], vcc, v[25:26], v[29:30], v[25:26]
	v_mul_f64 v[37:38], v[35:36], v[33:34]
	v_fma_f64 v[27:28], -v[27:28], v[37:38], v[35:36]
	s_nop 1
	v_div_fmas_f64 v[27:28], v[27:28], v[33:34], v[37:38]
	v_mul_f64 v[33:34], v[19:20], v[19:20]
	v_mul_f64 v[37:38], v[33:34], v[33:34]
	v_div_fixup_f64 v[25:26], v[27:28], v[29:30], v[25:26]
	v_mul_f64 v[27:28], v[33:34], 0.5
	v_add_f64 v[29:30], -v[27:28], 1.0
	v_add_f64 v[35:36], -v[29:30], 1.0
	v_add_f64 v[35:36], v[35:36], -v[27:28]
	v_mov_b32_e32 v28, s1
	v_mov_b32_e32 v27, s0
	v_fma_f64 v[39:40], v[33:34], s[8:9], v[27:28]
	s_mov_b32 s0, 0xb42fdfa7
	s_mov_b32 s1, 0xbe5ae600
	v_fma_f64 v[35:36], v[19:20], -v[21:22], v[35:36]
	v_fma_f64 v[39:40], v[33:34], v[39:40], s[10:11]
	v_fma_f64 v[39:40], v[33:34], v[39:40], s[12:13]
	;; [unrolled: 1-line block ×5, first 2 shown]
	v_mul_f64 v[39:40], v[19:20], -v[33:34]
	v_add_f64 v[35:36], v[29:30], v[35:36]
	v_mov_b32_e32 v30, s1
	v_mov_b32_e32 v29, s0
	v_fma_f64 v[37:38], v[33:34], s[18:19], v[29:30]
	s_movk_i32 s0, 0x1f8
	v_cmp_class_f64_e64 s[0:1], v[17:18], s0
	v_fma_f64 v[37:38], v[33:34], v[37:38], s[20:21]
	v_fma_f64 v[37:38], v[33:34], v[37:38], s[22:23]
	;; [unrolled: 1-line block ×4, first 2 shown]
	v_fma_f64 v[21:22], v[33:34], v[37:38], -v[21:22]
	v_fma_f64 v[21:22], v[39:40], s[26:27], v[21:22]
	v_add_f64 v[19:20], v[19:20], -v[21:22]
	v_and_b32_e32 v21, 1, v8
	v_lshlrev_b32_e32 v8, 30, v8
	v_cmp_eq_u32_e32 vcc, 0, v21
	v_xor_b32_e32 v8, v8, v18
	v_and_b32_e32 v8, 0x80000000, v8
	v_cndmask_b32_e32 v20, v36, v20, vcc
	v_cndmask_b32_e32 v19, v35, v19, vcc
	v_xor_b32_e32 v20, v20, v8
	v_mov_b32_e32 v8, 0x7ff80000
	v_cndmask_b32_e64 v17, 0, v19, s[0:1]
	v_cndmask_b32_e64 v18, v8, v20, s[0:1]
	v_div_scale_f64 v[19:20], s[30:31], v[13:14], v[13:14], s[28:29]
	v_rcp_f64_e32 v[21:22], v[19:20]
	v_fma_f64 v[33:34], -v[19:20], v[21:22], 1.0
	v_fma_f64 v[21:22], v[21:22], v[33:34], v[21:22]
	v_fma_f64 v[33:34], -v[19:20], v[21:22], 1.0
	v_fma_f64 v[21:22], v[21:22], v[33:34], v[21:22]
	v_div_scale_f64 v[33:34], vcc, s[28:29], v[13:14], s[28:29]
	v_mul_f64 v[35:36], v[33:34], v[21:22]
	v_fma_f64 v[19:20], -v[19:20], v[35:36], v[33:34]
	s_nop 1
	v_div_fmas_f64 v[19:20], v[19:20], v[21:22], v[35:36]
	v_div_fixup_f64 v[19:20], v[19:20], v[13:14], s[28:29]
	v_div_scale_f64 v[21:22], s[28:29], v[31:32], v[31:32], v[23:24]
	v_rcp_f64_e32 v[33:34], v[21:22]
	v_fma_f64 v[35:36], -v[21:22], v[33:34], 1.0
	v_fma_f64 v[33:34], v[33:34], v[35:36], v[33:34]
	v_fma_f64 v[35:36], -v[21:22], v[33:34], 1.0
	v_fma_f64 v[33:34], v[33:34], v[35:36], v[33:34]
	v_div_scale_f64 v[35:36], vcc, v[23:24], v[31:32], v[23:24]
	v_mul_f64 v[37:38], v[35:36], v[33:34]
	v_fma_f64 v[21:22], -v[21:22], v[37:38], v[35:36]
	s_nop 1
	v_div_fmas_f64 v[21:22], v[21:22], v[33:34], v[37:38]
	v_div_fixup_f64 v[21:22], v[21:22], v[31:32], v[23:24]
	v_mul_f64 v[19:20], v[19:20], v[21:22]
	v_mul_f64 v[21:22], v[11:12], v[11:12]
	v_mul_f64 v[23:24], v[21:22], 0.5
	v_fma_f64 v[27:28], v[21:22], s[8:9], v[27:28]
	v_add_f64 v[31:32], -v[23:24], 1.0
	v_fma_f64 v[27:28], v[21:22], v[27:28], s[10:11]
	v_add_f64 v[33:34], -v[31:32], 1.0
	v_fma_f64 v[27:28], v[21:22], v[27:28], s[12:13]
	v_add_f64 v[23:24], v[33:34], -v[23:24]
	v_fma_f64 v[27:28], v[21:22], v[27:28], s[14:15]
	v_mul_f64 v[33:34], v[21:22], v[21:22]
	v_fma_f64 v[23:24], v[11:12], -v[15:16], v[23:24]
	v_fma_f64 v[27:28], v[21:22], v[27:28], s[16:17]
	v_fma_f64 v[23:24], v[33:34], v[27:28], v[23:24]
	v_fma_f64 v[27:28], v[21:22], s[18:19], v[29:30]
	v_mul_f64 v[29:30], v[11:12], -v[21:22]
	v_add_f64 v[23:24], v[31:32], v[23:24]
	v_fma_f64 v[27:28], v[21:22], v[27:28], s[20:21]
	v_mul_f64 v[31:32], v[15:16], 0.5
	v_fma_f64 v[27:28], v[21:22], v[27:28], s[22:23]
	v_fma_f64 v[27:28], v[21:22], v[27:28], s[24:25]
	;; [unrolled: 1-line block ×3, first 2 shown]
	v_fma_f64 v[15:16], v[21:22], v[27:28], -v[15:16]
	v_fma_f64 v[15:16], v[29:30], s[26:27], v[15:16]
	v_add_f64 v[11:12], v[11:12], -v[15:16]
	v_and_b32_e32 v15, 1, v4
	v_cmp_eq_u32_e32 vcc, 0, v15
	v_lshlrev_b32_e32 v4, 30, v4
	v_and_b32_e32 v4, 0x80000000, v4
	v_xor_b32_e32 v12, 0x80000000, v12
	v_cndmask_b32_e32 v12, v12, v24, vcc
	v_cndmask_b32_e32 v11, v11, v23, vcc
	v_xor_b32_e32 v4, v12, v4
	v_cndmask_b32_e64 v11, 0, v11, s[0:1]
	v_cndmask_b32_e64 v12, v8, v4, s[0:1]
	v_mul_f64 v[11:12], v[19:20], v[11:12]
	s_mov_b32 s0, 0x33d43651
	s_mov_b32 s1, 0x3fe98845
	v_mov_b32_e32 v4, 0x100
	v_fma_f64 v[11:12], v[25:26], v[17:18], v[11:12]
	v_mul_f64 v[11:12], v[11:12], s[0:1]
	s_mov_b32 s0, 0
	s_brev_b32 s1, 8
	v_cmp_gt_f64_e32 vcc, s[0:1], v[13:14]
	v_cndmask_b32_e32 v4, 0, v4, vcc
	v_ldexp_f64 v[13:14], v[13:14], v4
	v_mov_b32_e32 v4, 0xffffff80
	v_cndmask_b32_e32 v4, 0, v4, vcc
	v_rsq_f64_e32 v[15:16], v[13:14]
	v_mul_f64 v[17:18], v[13:14], v[15:16]
	v_mul_f64 v[15:16], v[15:16], 0.5
	v_fma_f64 v[19:20], -v[15:16], v[17:18], 0.5
	v_fma_f64 v[17:18], v[17:18], v[19:20], v[17:18]
	v_fma_f64 v[15:16], v[15:16], v[19:20], v[15:16]
	v_fma_f64 v[21:22], -v[17:18], v[17:18], v[13:14]
	v_fma_f64 v[17:18], v[21:22], v[15:16], v[17:18]
	v_fma_f64 v[19:20], -v[17:18], v[17:18], v[13:14]
	v_fma_f64 v[15:16], v[19:20], v[15:16], v[17:18]
	v_ldexp_f64 v[15:16], v[15:16], v4
	v_mov_b32_e32 v4, 0x260
	v_cmp_class_f64_e32 vcc, v[13:14], v4
	v_cndmask_b32_e32 v14, v16, v14, vcc
	v_cndmask_b32_e32 v13, v15, v13, vcc
	v_div_scale_f64 v[15:16], s[0:1], v[13:14], v[13:14], v[11:12]
	v_rcp_f64_e32 v[17:18], v[15:16]
	v_fma_f64 v[19:20], -v[15:16], v[17:18], 1.0
	v_fma_f64 v[17:18], v[17:18], v[19:20], v[17:18]
	v_fma_f64 v[19:20], -v[15:16], v[17:18], 1.0
	v_fma_f64 v[17:18], v[17:18], v[19:20], v[17:18]
	v_div_scale_f64 v[19:20], vcc, v[11:12], v[13:14], v[11:12]
	v_mul_f64 v[21:22], v[19:20], v[17:18]
	v_fma_f64 v[15:16], -v[15:16], v[21:22], v[19:20]
	s_nop 1
	v_div_fmas_f64 v[15:16], v[15:16], v[17:18], v[21:22]
	v_div_fixup_f64 v[11:12], v[15:16], v[13:14], v[11:12]
.LBB7_132:
	s_or_b64 exec, exec, s[2:3]
	global_load_dwordx2 v[4:5], v5, s[6:7]
	s_mov_b32 s0, 0
	s_mov_b32 s1, 0x40140000
                                        ; implicit-def: $vgpr13_vgpr14
	s_waitcnt vmcnt(0)
	v_cmp_ge_f64_e32 vcc, s[0:1], v[4:5]
	s_and_saveexec_b64 s[0:1], vcc
	s_xor_b64 s[0:1], exec, s[0:1]
	s_cbranch_execz .LBB7_142
; %bb.133:
	v_cmp_neq_f64_e32 vcc, 0, v[4:5]
	v_mov_b32_e32 v13, 0
	v_mov_b32_e32 v14, 0xfff00000
	s_and_saveexec_b64 s[2:3], vcc
	s_cbranch_execz .LBB7_141
; %bb.134:
	v_cmp_ngt_f64_e32 vcc, 0, v[4:5]
	v_mov_b32_e32 v13, 0
	v_mov_b32_e32 v14, 0x7ff80000
	s_and_saveexec_b64 s[6:7], vcc
	s_cbranch_execz .LBB7_140
; %bb.135:
	v_mul_f64 v[13:14], v[4:5], v[4:5]
	s_mov_b32 s8, 0x88e368f1
	s_mov_b32 s9, 0x3ee4f8b5
	v_cmp_ngt_f64_e32 vcc, s[8:9], v[4:5]
                                        ; implicit-def: $vgpr15_vgpr16
	v_mul_f64 v[17:18], v[13:14], 0
	s_and_saveexec_b64 s[8:9], vcc
	s_xor_b64 s[8:9], exec, s[8:9]
	s_cbranch_execz .LBB7_137
; %bb.136:
	s_mov_b32 s10, 0xa696b78c
	s_mov_b32 s11, 0x407f3902
	v_add_f64 v[15:16], v[17:18], s[10:11]
	s_mov_b32 s10, 0x36a21a67
	s_mov_b32 s11, 0x410536cb
	;; [unrolled: 1-line block ×7, first 2 shown]
	v_fma_f64 v[15:16], v[13:14], v[15:16], s[10:11]
	s_mov_b32 s10, 0x2eac0634
	s_mov_b32 s11, 0x41871934
	;; [unrolled: 1-line block ×3, first 2 shown]
	v_fma_f64 v[15:16], v[13:14], v[15:16], s[10:11]
	s_mov_b32 s10, 0xad1c8325
	s_mov_b32 s11, 0xc1f1dc53
	v_add_f64 v[19:20], v[17:18], s[10:11]
	s_mov_b32 s10, 0xe0d900f7
	s_mov_b32 s11, 0xc2ec5614
	v_fma_f64 v[15:16], v[13:14], v[15:16], s[14:15]
	s_mov_b32 s14, 0x72182e46
	s_mov_b32 s15, 0x427ebeb3
	v_fma_f64 v[19:20], v[13:14], v[19:20], s[12:13]
	s_mov_b32 s12, 0x80462bbb
	s_mov_b32 s13, 0xc01721fb
	v_add_f64 v[21:22], v[13:14], s[12:13]
	s_mov_b32 s12, 0x69ff5fb4
	v_fma_f64 v[15:16], v[13:14], v[15:16], s[14:15]
	s_mov_b32 s14, 0xa621dd6f
	s_mov_b32 s15, 0xc03e78a4
	v_add_f64 v[23:24], v[13:14], s[14:15]
	v_fma_f64 v[19:20], v[13:14], v[19:20], s[10:11]
	s_mov_b32 s10, 0x7e7b2e9c
	s_mov_b32 s11, 0x435c4141
	s_mov_b32 s13, 0x43413ef8
	v_fma_f64 v[15:16], v[13:14], v[15:16], s[16:17]
	v_mul_f64 v[21:22], v[21:22], v[23:24]
	v_fma_f64 v[19:20], v[13:14], v[19:20], s[12:13]
	v_fma_f64 v[15:16], v[13:14], v[15:16], s[10:11]
	s_mov_b32 s10, 0xc7b662cc
	s_mov_b32 s11, 0x43b7be34
	v_mul_f64 v[19:20], v[21:22], v[19:20]
	v_fma_f64 v[15:16], v[13:14], v[15:16], s[10:11]
	v_div_scale_f64 v[21:22], s[10:11], v[15:16], v[15:16], v[19:20]
	v_div_scale_f64 v[27:28], vcc, v[19:20], v[15:16], v[19:20]
	v_rcp_f64_e32 v[23:24], v[21:22]
	v_fma_f64 v[25:26], -v[21:22], v[23:24], 1.0
	v_fma_f64 v[23:24], v[23:24], v[25:26], v[23:24]
	v_fma_f64 v[25:26], -v[21:22], v[23:24], 1.0
	v_fma_f64 v[23:24], v[23:24], v[25:26], v[23:24]
	v_mul_f64 v[25:26], v[27:28], v[23:24]
	v_fma_f64 v[21:22], -v[21:22], v[25:26], v[27:28]
	v_div_fmas_f64 v[21:22], v[21:22], v[23:24], v[25:26]
	v_div_fixup_f64 v[15:16], v[21:22], v[15:16], v[19:20]
.LBB7_137:
	s_andn2_saveexec_b64 s[8:9], s[8:9]
	s_cbranch_execz .LBB7_139
; %bb.138:
	s_mov_b32 s10, 0
	s_mov_b32 s11, 0xbfd00000
	v_fma_f64 v[15:16], v[13:14], s[10:11], 1.0
.LBB7_139:
	s_or_b64 exec, exec, s[8:9]
	v_frexp_mant_f64_e32 v[19:20], v[4:5]
	s_mov_b32 s9, 0x3fe55555
	s_mov_b32 s8, 0x55555555
	;; [unrolled: 1-line block ×7, first 2 shown]
	v_cmp_gt_f64_e32 vcc, s[8:9], v[19:20]
	s_mov_b32 s21, 0x3fcc71c0
	s_mov_b32 s12, 0x32e48896
	;; [unrolled: 1-line block ×7, first 2 shown]
	v_cndmask_b32_e64 v8, 0, 1, vcc
	v_ldexp_f64 v[19:20], v[19:20], v8
	v_frexp_exp_i32_f64_e32 v8, v[4:5]
	s_mov_b32 s19, 0x42d3ea72
	s_mov_b32 s22, 0x660b4003
	;; [unrolled: 1-line block ×3, first 2 shown]
	v_add_f64 v[21:22], v[19:20], 1.0
	v_add_f64 v[27:28], v[19:20], -1.0
	v_subbrev_co_u32_e32 v8, vcc, 0, v8, vcc
	v_rcp_f64_e32 v[23:24], v[21:22]
	v_add_f64 v[29:30], v[21:22], -1.0
	v_add_f64 v[19:20], v[19:20], -v[29:30]
	v_fma_f64 v[25:26], -v[21:22], v[23:24], 1.0
	v_fma_f64 v[23:24], v[25:26], v[23:24], v[23:24]
	v_fma_f64 v[25:26], -v[21:22], v[23:24], 1.0
	v_fma_f64 v[23:24], v[25:26], v[23:24], v[23:24]
	v_mul_f64 v[25:26], v[27:28], v[23:24]
	v_mul_f64 v[31:32], v[21:22], v[25:26]
	v_fma_f64 v[21:22], v[25:26], v[21:22], -v[31:32]
	v_fma_f64 v[19:20], v[25:26], v[19:20], v[21:22]
	v_add_f64 v[21:22], v[31:32], v[19:20]
	v_add_f64 v[29:30], v[27:28], -v[21:22]
	v_add_f64 v[31:32], v[21:22], -v[31:32]
	;; [unrolled: 1-line block ×5, first 2 shown]
	v_mov_b32_e32 v27, 0x6b47b09a
	v_mov_b32_e32 v28, 0x3fc38538
	v_add_f64 v[19:20], v[19:20], v[21:22]
	v_add_f64 v[19:20], v[29:30], v[19:20]
	v_mul_f64 v[19:20], v[23:24], v[19:20]
	v_add_f64 v[21:22], v[25:26], v[19:20]
	v_mul_f64 v[23:24], v[21:22], v[21:22]
	v_fma_f64 v[27:28], v[23:24], s[10:11], v[27:28]
	s_mov_b32 s10, 0xe896898f
	s_mov_b32 s11, 0x40ce7437
	v_add_f64 v[29:30], v[17:18], s[10:11]
	s_mov_b32 s10, 0x9b27acf1
	s_mov_b32 s11, 0x3fd24924
	v_mul_f64 v[31:32], v[21:22], v[23:24]
	v_fma_f64 v[27:28], v[23:24], v[27:28], s[14:15]
	s_mov_b32 s14, 0xf0284cdd
	s_mov_b32 s15, 0x41f43f78
	v_fma_f64 v[29:30], v[13:14], v[29:30], s[12:13]
	s_mov_b32 s12, 0x5164d101
	s_mov_b32 s13, 0x41b00763
	;; [unrolled: 3-line block ×3, first 2 shown]
	v_fma_f64 v[29:30], v[13:14], v[29:30], s[14:15]
	v_fma_f64 v[27:28], v[23:24], v[27:28], s[10:11]
	s_mov_b32 s10, 0x576dfcb6
	s_mov_b32 s11, 0x40904522
	v_add_f64 v[17:18], v[17:18], s[10:11]
	s_mov_b32 s10, 0x998ef7b6
	s_mov_b32 s11, 0x3fd99999
	v_fma_f64 v[27:28], v[23:24], v[27:28], s[10:11]
	s_mov_b32 s10, 0xa907bc0c
	s_mov_b32 s11, 0x41231b76
	v_fma_f64 v[17:18], v[13:14], v[17:18], s[10:11]
	;; [unrolled: 3-line block ×3, first 2 shown]
	v_fma_f64 v[27:28], v[13:14], v[29:30], s[16:17]
	v_ldexp_f64 v[29:30], v[21:22], 1
	v_fma_f64 v[17:18], v[13:14], v[17:18], s[12:13]
	s_mov_b32 s8, 0x2b8664bc
	s_mov_b32 s9, 0x42341ddb
	v_add_f64 v[21:22], v[21:22], -v[25:26]
	s_mov_b32 s12, 0xdfeb596d
	v_mul_f64 v[23:24], v[31:32], v[23:24]
	s_mov_b32 s13, 0x43268910
	v_fma_f64 v[4:5], v[13:14], v[17:18], s[8:9]
	v_fma_f64 v[17:18], v[13:14], v[27:28], s[18:19]
	v_cvt_f64_i32_e32 v[27:28], v8
	s_mov_b32 s8, 0xfefa39ef
	s_mov_b32 s9, 0x3fe62e42
	v_add_f64 v[25:26], v[29:30], v[23:24]
	v_mul_f64 v[31:32], v[27:28], s[8:9]
	v_add_f64 v[19:20], v[19:20], -v[21:22]
	v_fma_f64 v[4:5], v[13:14], v[4:5], s[10:11]
	v_fma_f64 v[17:18], v[13:14], v[17:18], s[20:21]
	s_mov_b32 s10, 0xbcf9b5d0
	s_mov_b32 s11, 0x438bd25f
	v_add_f64 v[21:22], v[25:26], -v[29:30]
	v_fma_f64 v[29:30], v[27:28], s[8:9], -v[31:32]
	v_ldexp_f64 v[19:20], v[19:20], 1
	v_fma_f64 v[4:5], v[13:14], v[4:5], s[12:13]
	v_fma_f64 v[17:18], v[13:14], v[17:18], s[22:23]
	s_mov_b32 s8, 0x5906367b
	s_mov_b32 s9, 0xc3506d4b
	v_add_f64 v[21:22], v[23:24], -v[21:22]
	v_fma_f64 v[4:5], v[13:14], v[4:5], s[10:11]
	v_fma_f64 v[13:14], v[13:14], v[17:18], s[8:9]
	s_mov_b32 s8, 0x3b39803f
	s_mov_b32 s9, 0x3c7abc9e
	v_fma_f64 v[17:18], v[27:28], s[8:9], v[29:30]
	v_add_f64 v[19:20], v[19:20], v[21:22]
	v_div_scale_f64 v[21:22], s[8:9], v[4:5], v[4:5], v[13:14]
	s_mov_b32 s8, 0x6dc9c883
	v_add_f64 v[23:24], v[31:32], v[17:18]
	v_add_f64 v[27:28], v[25:26], v[19:20]
	s_mov_b32 s9, 0x3fe45f30
	v_add_f64 v[31:32], v[23:24], -v[31:32]
	v_add_f64 v[29:30], v[23:24], v[27:28]
	v_add_f64 v[25:26], v[27:28], -v[25:26]
	v_rcp_f64_e32 v[33:34], v[21:22]
	v_add_f64 v[17:18], v[17:18], -v[31:32]
	v_add_f64 v[35:36], v[29:30], -v[23:24]
	;; [unrolled: 1-line block ×5, first 2 shown]
	v_add_f64 v[31:32], v[17:18], v[19:20]
	v_fma_f64 v[39:40], -v[21:22], v[33:34], 1.0
	v_add_f64 v[23:24], v[23:24], -v[37:38]
	v_add_f64 v[35:36], v[31:32], -v[17:18]
	v_fma_f64 v[27:28], v[33:34], v[39:40], v[33:34]
	v_div_scale_f64 v[33:34], vcc, v[13:14], v[4:5], v[13:14]
	v_add_f64 v[23:24], v[25:26], v[23:24]
	v_add_f64 v[19:20], v[19:20], -v[35:36]
	v_fma_f64 v[25:26], -v[21:22], v[27:28], 1.0
	v_add_f64 v[23:24], v[31:32], v[23:24]
	v_fma_f64 v[25:26], v[27:28], v[25:26], v[27:28]
	v_add_f64 v[27:28], v[31:32], -v[35:36]
	v_add_f64 v[31:32], v[29:30], v[23:24]
	v_mul_f64 v[37:38], v[33:34], v[25:26]
	v_add_f64 v[17:18], v[17:18], -v[27:28]
	v_add_f64 v[27:28], v[31:32], -v[29:30]
	v_fma_f64 v[21:22], -v[21:22], v[37:38], v[33:34]
	v_add_f64 v[17:18], v[19:20], v[17:18]
	v_add_f64 v[19:20], v[23:24], -v[27:28]
	v_div_fmas_f64 v[21:22], v[21:22], v[25:26], v[37:38]
	v_add_f64 v[17:18], v[17:18], v[19:20]
	v_add_f64 v[17:18], v[31:32], v[17:18]
	v_div_fixup_f64 v[4:5], v[21:22], v[4:5], v[13:14]
	v_mul_f64 v[13:14], v[17:18], s[8:9]
	v_fma_f64 v[13:14], v[13:14], v[15:16], v[4:5]
.LBB7_140:
	s_or_b64 exec, exec, s[6:7]
.LBB7_141:
	s_or_b64 exec, exec, s[2:3]
                                        ; implicit-def: $vgpr4_vgpr5
.LBB7_142:
	s_andn2_saveexec_b64 s[2:3], s[0:1]
	s_cbranch_execz .LBB7_152
; %bb.143:
	s_mov_b32 s9, 0xbfe921fb
	s_mov_b32 s8, 0x54442d18
	v_add_f64 v[17:18], v[4:5], s[8:9]
	s_mov_b32 s0, 0
	s_mov_b32 s1, 0x41d00000
                                        ; implicit-def: $vgpr33
                                        ; implicit-def: $vgpr19_vgpr20
                                        ; implicit-def: $vgpr21_vgpr22
	v_trig_preop_f64 v[27:28], |v[17:18]|, 0
	v_trig_preop_f64 v[25:26], |v[17:18]|, 1
	;; [unrolled: 1-line block ×3, first 2 shown]
	v_cmp_nlt_f64_e64 s[6:7], |v[17:18]|, s[0:1]
	s_and_saveexec_b64 s[0:1], s[6:7]
	s_xor_b64 s[10:11], exec, s[0:1]
	s_cbranch_execz .LBB7_145
; %bb.144:
	s_mov_b32 s0, 0
	s_mov_b32 s1, 0x7b000000
	s_movk_i32 s9, 0xff80
	v_ldexp_f64 v[13:14], |v[17:18]|, s9
	v_cmp_ge_f64_e64 vcc, |v[17:18]|, s[0:1]
	v_and_b32_e32 v8, 0x7fffffff, v18
	s_mov_b32 s0, 0
	s_mov_b32 s1, 0x7ff00000
	v_mov_b32_e32 v41, 0
	s_mov_b32 s9, 0x3ff921fb
	v_cndmask_b32_e32 v14, v8, v14, vcc
	v_cndmask_b32_e32 v13, v17, v13, vcc
	v_mul_f64 v[15:16], v[27:28], v[13:14]
	v_mul_f64 v[19:20], v[25:26], v[13:14]
	;; [unrolled: 1-line block ×3, first 2 shown]
	v_mov_b32_e32 v8, 0x40100000
	v_fma_f64 v[21:22], v[27:28], v[13:14], -v[15:16]
	v_fma_f64 v[37:38], v[25:26], v[13:14], -v[19:20]
	;; [unrolled: 1-line block ×3, first 2 shown]
	v_add_f64 v[29:30], v[19:20], v[21:22]
	v_add_f64 v[31:32], v[29:30], -v[19:20]
	v_add_f64 v[39:40], v[15:16], v[29:30]
	v_add_f64 v[33:34], v[29:30], -v[31:32]
	v_add_f64 v[21:22], v[21:22], -v[31:32]
	v_add_f64 v[31:32], v[35:36], v[37:38]
	v_add_f64 v[15:16], v[39:40], -v[15:16]
	v_add_f64 v[19:20], v[19:20], -v[33:34]
	v_ldexp_f64 v[33:34], v[39:40], -2
	v_add_f64 v[43:44], v[31:32], -v[35:36]
	v_add_f64 v[15:16], v[29:30], -v[15:16]
	v_add_f64 v[19:20], v[21:22], v[19:20]
	v_fract_f64_e32 v[21:22], v[33:34]
	v_cmp_neq_f64_e64 vcc, |v[33:34]|, s[0:1]
	v_add_f64 v[37:38], v[37:38], -v[43:44]
	v_add_f64 v[29:30], v[31:32], v[19:20]
	v_ldexp_f64 v[21:22], v[21:22], 2
	v_add_f64 v[33:34], v[15:16], v[29:30]
	v_cndmask_b32_e32 v22, 0, v22, vcc
	v_cndmask_b32_e32 v21, 0, v21, vcc
	v_add_f64 v[45:46], v[29:30], -v[31:32]
	v_add_f64 v[39:40], v[33:34], v[21:22]
	v_add_f64 v[15:16], v[33:34], -v[15:16]
	v_add_f64 v[47:48], v[29:30], -v[45:46]
	;; [unrolled: 1-line block ×3, first 2 shown]
	v_cmp_gt_f64_e32 vcc, 0, v[39:40]
	v_add_f64 v[39:40], v[31:32], -v[43:44]
	v_add_f64 v[15:16], v[29:30], -v[15:16]
	;; [unrolled: 1-line block ×3, first 2 shown]
	v_cndmask_b32_e32 v42, 0, v8, vcc
	v_add_f64 v[21:22], v[21:22], v[41:42]
	v_add_f64 v[39:40], v[35:36], -v[39:40]
	v_add_f64 v[19:20], v[19:20], v[31:32]
	v_add_f64 v[49:50], v[33:34], v[21:22]
	;; [unrolled: 1-line block ×3, first 2 shown]
	v_cvt_i32_f64_e32 v8, v[49:50]
	v_add_f64 v[19:20], v[37:38], v[19:20]
	v_cvt_f64_i32_e32 v[42:43], v8
	v_add_f64 v[21:22], v[21:22], -v[42:43]
	v_add_f64 v[13:14], v[13:14], v[19:20]
	v_add_f64 v[31:32], v[33:34], v[21:22]
	;; [unrolled: 1-line block ×3, first 2 shown]
	v_add_f64 v[19:20], v[31:32], -v[21:22]
	v_cmp_le_f64_e32 vcc, 0.5, v[31:32]
	v_add_f64 v[15:16], v[33:34], -v[19:20]
	v_mov_b32_e32 v19, 0x3ff00000
	v_cndmask_b32_e32 v42, 0, v19, vcc
	v_addc_co_u32_e64 v33, s[0:1], 0, v8, vcc
	s_mov_b32 s0, 0x33145c07
	s_mov_b32 s1, 0x3c91a626
	v_add_f64 v[13:14], v[13:14], v[15:16]
	v_add_f64 v[15:16], v[31:32], -v[41:42]
	v_add_f64 v[19:20], v[15:16], v[13:14]
	v_mul_f64 v[21:22], v[19:20], s[8:9]
	v_add_f64 v[15:16], v[19:20], -v[15:16]
	v_fma_f64 v[29:30], v[19:20], s[8:9], -v[21:22]
	v_add_f64 v[13:14], v[13:14], -v[15:16]
	v_fma_f64 v[15:16], v[19:20], s[0:1], v[29:30]
	v_fma_f64 v[13:14], v[13:14], s[8:9], v[15:16]
	v_add_f64 v[19:20], v[21:22], v[13:14]
	v_add_f64 v[15:16], v[19:20], -v[21:22]
	v_add_f64 v[21:22], v[13:14], -v[15:16]
	s_andn2_saveexec_b64 s[0:1], s[10:11]
	s_cbranch_execz .LBB7_147
	s_branch .LBB7_146
.LBB7_145:
	s_andn2_saveexec_b64 s[0:1], s[10:11]
	s_cbranch_execz .LBB7_147
.LBB7_146:
	s_mov_b32 s8, 0x6dc9c883
	s_mov_b32 s9, 0x3fe45f30
	v_mul_f64 v[13:14], |v[17:18]|, s[8:9]
	s_mov_b32 s8, 0x54442d18
	s_mov_b32 s9, 0xbff921fb
	s_mov_b32 s11, 0xbc91a626
	s_mov_b32 s10, 0x33145c00
	v_rndne_f64_e32 v[13:14], v[13:14]
	v_fma_f64 v[15:16], v[13:14], s[8:9], |v[17:18]|
	v_mul_f64 v[19:20], v[13:14], s[10:11]
	s_mov_b32 s8, 0x252049c0
	s_mov_b32 s9, 0xb97b839a
	v_cvt_i32_f64_e32 v33, v[13:14]
	v_add_f64 v[21:22], v[15:16], v[19:20]
	v_add_f64 v[29:30], v[15:16], -v[21:22]
	v_fma_f64 v[15:16], v[13:14], s[10:11], v[15:16]
	s_mov_b32 s11, 0x3c91a626
	v_add_f64 v[29:30], v[29:30], v[19:20]
	v_add_f64 v[21:22], v[21:22], -v[15:16]
	v_fma_f64 v[19:20], v[13:14], s[10:11], v[19:20]
	v_add_f64 v[21:22], v[21:22], v[29:30]
	v_add_f64 v[19:20], v[21:22], -v[19:20]
	v_fma_f64 v[21:22], v[13:14], s[8:9], v[19:20]
	v_add_f64 v[19:20], v[15:16], v[21:22]
	v_add_f64 v[15:16], v[19:20], -v[15:16]
	v_add_f64 v[21:22], v[21:22], -v[15:16]
.LBB7_147:
	s_or_b64 exec, exec, s[0:1]
                                        ; implicit-def: $vgpr8
                                        ; implicit-def: $vgpr13_vgpr14
                                        ; implicit-def: $vgpr15_vgpr16
	s_and_saveexec_b64 s[0:1], s[6:7]
	s_xor_b64 s[6:7], exec, s[0:1]
	s_cbranch_execz .LBB7_149
; %bb.148:
	s_mov_b32 s0, 0
	s_mov_b32 s1, 0x7b000000
	s_movk_i32 s8, 0xff80
	v_ldexp_f64 v[13:14], |v[17:18]|, s8
	v_cmp_ge_f64_e64 vcc, |v[17:18]|, s[0:1]
	v_and_b32_e32 v8, 0x7fffffff, v18
	s_mov_b32 s0, 0
	s_mov_b32 s1, 0x7ff00000
	v_mov_b32_e32 v42, 0
	s_mov_b32 s8, 0x33145c07
	s_mov_b32 s9, 0x3c91a626
	v_cndmask_b32_e32 v14, v8, v14, vcc
	v_cndmask_b32_e32 v13, v17, v13, vcc
	v_mul_f64 v[15:16], v[27:28], v[13:14]
	v_mul_f64 v[29:30], v[25:26], v[13:14]
	;; [unrolled: 1-line block ×3, first 2 shown]
	v_mov_b32_e32 v8, 0x40100000
	v_fma_f64 v[27:28], v[27:28], v[13:14], -v[15:16]
	v_fma_f64 v[25:26], v[25:26], v[13:14], -v[29:30]
	;; [unrolled: 1-line block ×3, first 2 shown]
	v_add_f64 v[31:32], v[29:30], v[27:28]
	v_add_f64 v[34:35], v[31:32], -v[29:30]
	v_add_f64 v[40:41], v[15:16], v[31:32]
	v_add_f64 v[36:37], v[31:32], -v[34:35]
	v_add_f64 v[27:28], v[27:28], -v[34:35]
	v_add_f64 v[34:35], v[38:39], v[25:26]
	v_add_f64 v[15:16], v[40:41], -v[15:16]
	v_add_f64 v[29:30], v[29:30], -v[36:37]
	v_ldexp_f64 v[36:37], v[40:41], -2
	v_add_f64 v[44:45], v[34:35], -v[38:39]
	v_add_f64 v[15:16], v[31:32], -v[15:16]
	v_add_f64 v[27:28], v[27:28], v[29:30]
	v_fract_f64_e32 v[29:30], v[36:37]
	v_cmp_neq_f64_e64 vcc, |v[36:37]|, s[0:1]
	v_add_f64 v[25:26], v[25:26], -v[44:45]
	v_add_f64 v[31:32], v[34:35], v[27:28]
	v_ldexp_f64 v[29:30], v[29:30], 2
	v_add_f64 v[36:37], v[15:16], v[31:32]
	v_cndmask_b32_e32 v30, 0, v30, vcc
	v_cndmask_b32_e32 v29, 0, v29, vcc
	v_add_f64 v[46:47], v[31:32], -v[34:35]
	v_add_f64 v[40:41], v[36:37], v[29:30]
	v_add_f64 v[15:16], v[36:37], -v[15:16]
	v_add_f64 v[48:49], v[31:32], -v[46:47]
	;; [unrolled: 1-line block ×3, first 2 shown]
	v_cmp_gt_f64_e32 vcc, 0, v[40:41]
	v_add_f64 v[40:41], v[34:35], -v[44:45]
	v_add_f64 v[15:16], v[31:32], -v[15:16]
	;; [unrolled: 1-line block ×3, first 2 shown]
	v_cndmask_b32_e32 v43, 0, v8, vcc
	v_add_f64 v[29:30], v[29:30], v[42:43]
	v_add_f64 v[40:41], v[38:39], -v[40:41]
	v_add_f64 v[27:28], v[27:28], v[34:35]
	v_add_f64 v[50:51], v[36:37], v[29:30]
	;; [unrolled: 1-line block ×3, first 2 shown]
	v_cvt_i32_f64_e32 v8, v[50:51]
	v_add_f64 v[23:24], v[25:26], v[27:28]
	v_cvt_f64_i32_e32 v[43:44], v8
	v_add_f64 v[29:30], v[29:30], -v[43:44]
	v_add_f64 v[13:14], v[13:14], v[23:24]
	v_add_f64 v[25:26], v[36:37], v[29:30]
	;; [unrolled: 1-line block ×3, first 2 shown]
	v_add_f64 v[23:24], v[25:26], -v[29:30]
	v_cmp_le_f64_e32 vcc, 0.5, v[25:26]
	v_add_f64 v[15:16], v[36:37], -v[23:24]
	v_mov_b32_e32 v23, 0x3ff00000
	v_cndmask_b32_e32 v43, 0, v23, vcc
	v_addc_co_u32_e64 v8, s[0:1], 0, v8, vcc
	s_mov_b32 s0, 0x54442d18
	s_mov_b32 s1, 0x3ff921fb
	v_add_f64 v[13:14], v[13:14], v[15:16]
	v_add_f64 v[15:16], v[25:26], -v[42:43]
	v_add_f64 v[23:24], v[15:16], v[13:14]
	v_mul_f64 v[25:26], v[23:24], s[0:1]
	v_add_f64 v[15:16], v[23:24], -v[15:16]
	v_fma_f64 v[27:28], v[23:24], s[0:1], -v[25:26]
	v_add_f64 v[13:14], v[13:14], -v[15:16]
	v_fma_f64 v[15:16], v[23:24], s[8:9], v[27:28]
	v_fma_f64 v[15:16], v[13:14], s[0:1], v[15:16]
	v_add_f64 v[13:14], v[25:26], v[15:16]
	v_add_f64 v[23:24], v[13:14], -v[25:26]
	v_add_f64 v[15:16], v[15:16], -v[23:24]
	s_andn2_saveexec_b64 s[0:1], s[6:7]
	s_cbranch_execnz .LBB7_150
	s_branch .LBB7_151
.LBB7_149:
	s_andn2_saveexec_b64 s[0:1], s[6:7]
	s_cbranch_execz .LBB7_151
.LBB7_150:
	s_mov_b32 s6, 0x6dc9c883
	s_mov_b32 s7, 0x3fe45f30
	v_mul_f64 v[13:14], |v[17:18]|, s[6:7]
	s_mov_b32 s6, 0x54442d18
	s_mov_b32 s7, 0xbff921fb
	s_mov_b32 s9, 0xbc91a626
	s_mov_b32 s8, 0x33145c00
	v_rndne_f64_e32 v[23:24], v[13:14]
	v_fma_f64 v[13:14], v[23:24], s[6:7], |v[17:18]|
	v_mul_f64 v[15:16], v[23:24], s[8:9]
	s_mov_b32 s6, 0x252049c0
	s_mov_b32 s7, 0xb97b839a
	v_cvt_i32_f64_e32 v8, v[23:24]
	v_fma_f64 v[29:30], v[23:24], s[8:9], v[13:14]
	v_add_f64 v[25:26], v[13:14], v[15:16]
	s_mov_b32 s9, 0x3c91a626
	v_add_f64 v[27:28], v[13:14], -v[25:26]
	v_add_f64 v[25:26], v[25:26], -v[29:30]
	v_add_f64 v[13:14], v[27:28], v[15:16]
	v_fma_f64 v[15:16], v[23:24], s[8:9], v[15:16]
	v_add_f64 v[13:14], v[25:26], v[13:14]
	v_add_f64 v[13:14], v[13:14], -v[15:16]
	v_fma_f64 v[15:16], v[23:24], s[6:7], v[13:14]
	v_add_f64 v[13:14], v[29:30], v[15:16]
	v_add_f64 v[25:26], v[13:14], -v[29:30]
	v_add_f64 v[15:16], v[15:16], -v[25:26]
.LBB7_151:
	s_or_b64 exec, exec, s[0:1]
	v_mul_f64 v[23:24], v[4:5], v[4:5]
	s_mov_b32 s0, 0
	s_mov_b32 s1, 0x40390000
	;; [unrolled: 1-line block ×7, first 2 shown]
	v_div_scale_f64 v[25:26], s[6:7], v[23:24], v[23:24], s[0:1]
	s_mov_b32 s6, 0x46cc5e42
	s_mov_b32 s7, 0xbda907db
	;; [unrolled: 1-line block ×13, first 2 shown]
	v_mul_f64 v[42:43], v[21:22], 0.5
	v_rcp_f64_e32 v[27:28], v[25:26]
	s_mov_b32 s25, 0xbfc55555
	s_mov_b32 s24, s14
	;; [unrolled: 1-line block ×4, first 2 shown]
	v_fma_f64 v[29:30], -v[25:26], v[27:28], 1.0
	v_fma_f64 v[27:28], v[27:28], v[29:30], v[27:28]
	v_fma_f64 v[29:30], -v[25:26], v[27:28], 1.0
	v_fma_f64 v[27:28], v[27:28], v[29:30], v[27:28]
	v_div_scale_f64 v[29:30], vcc, s[0:1], v[23:24], s[0:1]
	v_mul_f64 v[31:32], v[29:30], v[27:28]
	v_fma_f64 v[25:26], -v[25:26], v[31:32], v[29:30]
	s_nop 1
	v_div_fmas_f64 v[25:26], v[25:26], v[27:28], v[31:32]
	v_mov_b32_e32 v31, 0x413c25ac
	v_mov_b32_e32 v32, 0x40501457
	v_div_fixup_f64 v[25:26], v[25:26], v[23:24], s[0:1]
	v_mov_b32_e32 v23, 0x983b6b27
	v_mov_b32_e32 v24, 0x3f4a1d30
	s_mov_b32 s0, 0xb35dd1cf
	s_mov_b32 s1, 0x3fb534b0
	v_fma_f64 v[23:24], v[25:26], 0, v[23:24]
	v_fma_f64 v[31:32], v[25:26], 0, v[31:32]
	;; [unrolled: 1-line block ×3, first 2 shown]
	s_mov_b32 s0, 0x4e680b98
	s_mov_b32 s1, 0x3ff3d521
	v_fma_f64 v[23:24], v[25:26], v[23:24], s[0:1]
	s_mov_b32 s0, 0xe97a0956
	s_mov_b32 s1, 0x4015c9fb
	v_fma_f64 v[23:24], v[25:26], v[23:24], s[0:1]
	;; [unrolled: 3-line block ×4, first 2 shown]
	v_mov_b32_e32 v23, 0xce039737
	v_mov_b32_e32 v24, 0x3f4e4a80
	v_fma_f64 v[23:24], v[25:26], 0, v[23:24]
	s_mov_b32 s0, 0xab5454e3
	s_mov_b32 s1, 0x3fb5ebc5
	v_fma_f64 v[23:24], v[25:26], v[23:24], s[0:1]
	s_mov_b32 s0, 0xc9b3069f
	s_mov_b32 s1, 0x3ff40e72
	;; [unrolled: 3-line block ×6, first 2 shown]
	v_fma_f64 v[29:30], v[25:26], v[23:24], 1.0
	v_mov_b32_e32 v23, 0x38a5384a
	v_mov_b32_e32 v24, 0xbf874742
	v_fma_f64 v[23:24], v[25:26], 0, v[23:24]
	v_fma_f64 v[23:24], v[25:26], v[23:24], s[0:1]
	s_mov_b32 s0, 0xf50e2c0c
	s_mov_b32 s1, 0xc0338dcf
	v_fma_f64 v[23:24], v[25:26], v[23:24], s[0:1]
	s_mov_b32 s0, 0x5a6de8c4
	s_mov_b32 s1, 0xc0574d2f
	;; [unrolled: 3-line block ×12, first 2 shown]
	v_fma_f64 v[31:32], v[25:26], v[31:32], s[0:1]
	v_fma_f64 v[25:26], v[25:26], v[27:28], 1.0
	v_div_scale_f64 v[27:28], s[0:1], v[29:30], v[29:30], v[25:26]
	s_mov_b32 s0, 0x9037ab78
	s_mov_b32 s1, 0x3e21eeb6
	v_rcp_f64_e32 v[34:35], v[27:28]
	v_fma_f64 v[36:37], -v[27:28], v[34:35], 1.0
	v_fma_f64 v[34:35], v[34:35], v[36:37], v[34:35]
	v_fma_f64 v[36:37], -v[27:28], v[34:35], 1.0
	v_fma_f64 v[34:35], v[34:35], v[36:37], v[34:35]
	v_div_scale_f64 v[36:37], vcc, v[25:26], v[29:30], v[25:26]
	v_mul_f64 v[38:39], v[36:37], v[34:35]
	v_fma_f64 v[27:28], -v[27:28], v[38:39], v[36:37]
	s_nop 1
	v_div_fmas_f64 v[27:28], v[27:28], v[34:35], v[38:39]
	v_mul_f64 v[34:35], v[19:20], v[19:20]
	v_mul_f64 v[38:39], v[34:35], v[34:35]
	v_div_fixup_f64 v[25:26], v[27:28], v[29:30], v[25:26]
	v_mul_f64 v[27:28], v[34:35], 0.5
	v_add_f64 v[29:30], -v[27:28], 1.0
	v_add_f64 v[36:37], -v[29:30], 1.0
	v_add_f64 v[36:37], v[36:37], -v[27:28]
	v_mov_b32_e32 v28, s1
	v_mov_b32_e32 v27, s0
	v_fma_f64 v[40:41], v[34:35], s[6:7], v[27:28]
	s_mov_b32 s0, 0xb42fdfa7
	s_mov_b32 s1, 0xbe5ae600
	v_fma_f64 v[36:37], v[19:20], -v[21:22], v[36:37]
	v_fma_f64 v[40:41], v[34:35], v[40:41], s[8:9]
	v_fma_f64 v[40:41], v[34:35], v[40:41], s[10:11]
	;; [unrolled: 1-line block ×5, first 2 shown]
	v_mul_f64 v[40:41], v[19:20], -v[34:35]
	v_add_f64 v[36:37], v[29:30], v[36:37]
	v_mov_b32_e32 v30, s1
	v_mov_b32_e32 v29, s0
	v_fma_f64 v[38:39], v[34:35], s[16:17], v[29:30]
	s_movk_i32 s0, 0x1f8
	v_cmp_class_f64_e64 s[0:1], v[17:18], s0
	v_fma_f64 v[38:39], v[34:35], v[38:39], s[18:19]
	v_fma_f64 v[38:39], v[34:35], v[38:39], s[20:21]
	;; [unrolled: 1-line block ×4, first 2 shown]
	v_fma_f64 v[21:22], v[34:35], v[38:39], -v[21:22]
	v_fma_f64 v[21:22], v[40:41], s[24:25], v[21:22]
	v_add_f64 v[19:20], v[19:20], -v[21:22]
	v_and_b32_e32 v21, 1, v33
	v_cmp_eq_u32_e32 vcc, 0, v21
	v_lshlrev_b32_e32 v21, 30, v33
	v_xor_b32_e32 v21, v21, v18
	v_and_b32_e32 v21, 0x80000000, v21
	v_cndmask_b32_e32 v19, v36, v19, vcc
	v_cndmask_b32_e32 v20, v37, v20, vcc
	v_xor_b32_e32 v20, v20, v21
	v_cndmask_b32_e64 v17, 0, v19, s[0:1]
	v_mov_b32_e32 v19, 0x7ff80000
	v_cndmask_b32_e64 v18, v19, v20, s[0:1]
	v_div_scale_f64 v[20:21], s[28:29], v[4:5], v[4:5], s[26:27]
	v_rcp_f64_e32 v[33:34], v[20:21]
	v_fma_f64 v[35:36], -v[20:21], v[33:34], 1.0
	v_fma_f64 v[33:34], v[33:34], v[35:36], v[33:34]
	v_fma_f64 v[35:36], -v[20:21], v[33:34], 1.0
	v_fma_f64 v[33:34], v[33:34], v[35:36], v[33:34]
	v_div_scale_f64 v[35:36], vcc, s[26:27], v[4:5], s[26:27]
	v_mul_f64 v[37:38], v[35:36], v[33:34]
	v_fma_f64 v[20:21], -v[20:21], v[37:38], v[35:36]
	s_nop 1
	v_div_fmas_f64 v[20:21], v[20:21], v[33:34], v[37:38]
	v_div_fixup_f64 v[20:21], v[20:21], v[4:5], s[26:27]
	v_div_scale_f64 v[33:34], s[26:27], v[31:32], v[31:32], v[23:24]
	v_rcp_f64_e32 v[35:36], v[33:34]
	v_fma_f64 v[37:38], -v[33:34], v[35:36], 1.0
	v_fma_f64 v[35:36], v[35:36], v[37:38], v[35:36]
	v_fma_f64 v[37:38], -v[33:34], v[35:36], 1.0
	v_fma_f64 v[35:36], v[35:36], v[37:38], v[35:36]
	v_div_scale_f64 v[37:38], vcc, v[23:24], v[31:32], v[23:24]
	v_mul_f64 v[39:40], v[37:38], v[35:36]
	v_fma_f64 v[33:34], -v[33:34], v[39:40], v[37:38]
	s_nop 1
	v_div_fmas_f64 v[33:34], v[33:34], v[35:36], v[39:40]
	v_div_fixup_f64 v[22:23], v[33:34], v[31:32], v[23:24]
	v_mul_f64 v[20:21], v[20:21], v[22:23]
	v_mul_f64 v[22:23], v[13:14], v[13:14]
	v_mul_f64 v[31:32], v[22:23], 0.5
	v_fma_f64 v[27:28], v[22:23], s[6:7], v[27:28]
	v_fma_f64 v[29:30], v[22:23], s[16:17], v[29:30]
	v_add_f64 v[33:34], -v[31:32], 1.0
	v_fma_f64 v[27:28], v[22:23], v[27:28], s[8:9]
	v_fma_f64 v[29:30], v[22:23], v[29:30], s[18:19]
	v_add_f64 v[35:36], -v[33:34], 1.0
	v_fma_f64 v[27:28], v[22:23], v[27:28], s[10:11]
	v_fma_f64 v[29:30], v[22:23], v[29:30], s[20:21]
	v_add_f64 v[31:32], v[35:36], -v[31:32]
	v_fma_f64 v[27:28], v[22:23], v[27:28], s[12:13]
	v_mul_f64 v[35:36], v[22:23], v[22:23]
	v_fma_f64 v[29:30], v[22:23], v[29:30], s[22:23]
	v_fma_f64 v[31:32], v[13:14], -v[15:16], v[31:32]
	v_fma_f64 v[27:28], v[22:23], v[27:28], s[14:15]
	v_fma_f64 v[27:28], v[35:36], v[27:28], v[31:32]
	v_mul_f64 v[31:32], v[13:14], -v[22:23]
	v_add_f64 v[27:28], v[33:34], v[27:28]
	v_mul_f64 v[33:34], v[15:16], 0.5
	v_fma_f64 v[29:30], v[31:32], v[29:30], v[33:34]
	v_fma_f64 v[15:16], v[22:23], v[29:30], -v[15:16]
	v_fma_f64 v[15:16], v[31:32], s[24:25], v[15:16]
	v_add_f64 v[13:14], v[13:14], -v[15:16]
	v_and_b32_e32 v15, 1, v8
	v_cmp_eq_u32_e32 vcc, 0, v15
	v_lshlrev_b32_e32 v8, 30, v8
	v_and_b32_e32 v8, 0x80000000, v8
	v_xor_b32_e32 v14, 0x80000000, v14
	v_cndmask_b32_e32 v14, v14, v28, vcc
	v_cndmask_b32_e32 v13, v13, v27, vcc
	v_xor_b32_e32 v8, v14, v8
	v_cndmask_b32_e64 v13, 0, v13, s[0:1]
	v_cndmask_b32_e64 v14, v19, v8, s[0:1]
	v_mul_f64 v[13:14], v[20:21], v[13:14]
	s_mov_b32 s0, 0x33d43651
	s_mov_b32 s1, 0x3fe98845
	v_mov_b32_e32 v8, 0x100
	v_fma_f64 v[13:14], v[25:26], v[17:18], v[13:14]
	v_mul_f64 v[13:14], v[13:14], s[0:1]
	s_mov_b32 s0, 0
	s_brev_b32 s1, 8
	v_cmp_gt_f64_e32 vcc, s[0:1], v[4:5]
	v_cndmask_b32_e32 v8, 0, v8, vcc
	v_ldexp_f64 v[4:5], v[4:5], v8
	v_mov_b32_e32 v8, 0xffffff80
	v_cndmask_b32_e32 v8, 0, v8, vcc
	v_rsq_f64_e32 v[15:16], v[4:5]
	v_mul_f64 v[17:18], v[4:5], v[15:16]
	v_mul_f64 v[15:16], v[15:16], 0.5
	v_fma_f64 v[19:20], -v[15:16], v[17:18], 0.5
	v_fma_f64 v[17:18], v[17:18], v[19:20], v[17:18]
	v_fma_f64 v[15:16], v[15:16], v[19:20], v[15:16]
	v_fma_f64 v[21:22], -v[17:18], v[17:18], v[4:5]
	v_fma_f64 v[17:18], v[21:22], v[15:16], v[17:18]
	v_fma_f64 v[19:20], -v[17:18], v[17:18], v[4:5]
	v_fma_f64 v[15:16], v[19:20], v[15:16], v[17:18]
	v_ldexp_f64 v[15:16], v[15:16], v8
	v_mov_b32_e32 v8, 0x260
	v_cmp_class_f64_e32 vcc, v[4:5], v8
	v_cndmask_b32_e32 v5, v16, v5, vcc
	v_cndmask_b32_e32 v4, v15, v4, vcc
	v_div_scale_f64 v[15:16], s[0:1], v[4:5], v[4:5], v[13:14]
	v_rcp_f64_e32 v[17:18], v[15:16]
	v_fma_f64 v[19:20], -v[15:16], v[17:18], 1.0
	v_fma_f64 v[17:18], v[17:18], v[19:20], v[17:18]
	v_fma_f64 v[19:20], -v[15:16], v[17:18], 1.0
	v_fma_f64 v[17:18], v[17:18], v[19:20], v[17:18]
	v_div_scale_f64 v[19:20], vcc, v[13:14], v[4:5], v[13:14]
	v_mul_f64 v[21:22], v[19:20], v[17:18]
	v_fma_f64 v[15:16], -v[15:16], v[21:22], v[19:20]
	s_nop 1
	v_div_fmas_f64 v[15:16], v[15:16], v[17:18], v[21:22]
	v_div_fixup_f64 v[13:14], v[15:16], v[4:5], v[13:14]
.LBB7_152:
	s_or_b64 exec, exec, s[2:3]
	global_store_dwordx2 v0, v[6:7], s[4:5]
	global_store_dwordx2 v1, v[9:10], s[4:5]
	global_store_dwordx2 v2, v[11:12], s[4:5]
	global_store_dwordx2 v3, v[13:14], s[4:5]
	s_endpgm
.LBB7_153:
	v_mov_b32_e32 v0, 0
	v_mov_b32_e32 v2, 0
	s_branch .LBB7_159
.LBB7_154:
	v_mov_b32_e32 v0, 0
	v_mov_b32_e32 v2, 0
	s_branch .LBB7_195
.LBB7_155:
	s_mov_b32 s57, 0
	v_mov_b32_e32 v0, 0
	v_mov_b32_e32 v2, 0
	v_mov_b32_e32 v1, v27
.LBB7_156:
	s_and_b32 s4, s58, 3
	s_cmp_eq_u32 s4, 0
	s_cbranch_scc1 .LBB7_159
; %bb.157:
	s_lshl_b32 s0, s57, 3
	s_add_u32 s0, s34, s0
	s_addc_u32 s1, s35, 0
	s_add_u32 s0, s0, 0xc4
	s_addc_u32 s1, s1, 0
	s_mul_i32 s2, s57, 12
	s_add_u32 s2, s34, s2
	s_addc_u32 s3, s35, 0
.LBB7_158:                              ; =>This Inner Loop Header: Depth=1
	s_load_dwordx2 s[6:7], s[2:3], 0x4
	s_load_dword s5, s[2:3], 0xc
	s_load_dwordx2 s[8:9], s[0:1], 0x0
	s_add_u32 s2, s2, 12
	s_addc_u32 s3, s3, 0
	s_waitcnt lgkmcnt(0)
	v_mul_hi_u32 v3, s7, v1
	s_add_u32 s0, s0, 8
	s_addc_u32 s1, s1, 0
	s_add_i32 s4, s4, -1
	v_add_u32_e32 v3, v1, v3
	v_lshrrev_b32_e32 v4, s5, v3
	v_mul_lo_u32 v3, v4, s6
	s_cmp_lg_u32 s4, 0
	v_sub_u32_e32 v3, v1, v3
	v_mad_u64_u32 v[0:1], s[6:7], v3, s8, v[0:1]
	v_mad_u64_u32 v[2:3], s[6:7], v3, s9, v[2:3]
	v_mov_b32_e32 v1, v4
	s_cbranch_scc1 .LBB7_158
.LBB7_159:
	s_cbranch_execnz .LBB7_162
.LBB7_160:
	s_waitcnt lgkmcnt(0)
	v_mul_hi_u32 v0, s25, v27
	s_andn2_b64 vcc, exec, s[42:43]
	v_add_u32_e32 v0, v27, v0
	v_lshrrev_b32_e32 v1, s26, v0
	v_mul_lo_u32 v0, v1, s24
	v_sub_u32_e32 v2, v27, v0
	v_mul_lo_u32 v0, v2, s20
	v_mul_lo_u32 v2, v2, s21
	s_cbranch_vccnz .LBB7_162
; %bb.161:
	v_mul_hi_u32 v3, s40, v1
	v_add_u32_e32 v3, v1, v3
	v_lshrrev_b32_e32 v3, s41, v3
	v_mul_lo_u32 v3, v3, s27
	v_sub_u32_e32 v3, v1, v3
	v_mad_u64_u32 v[0:1], s[0:1], v3, s22, v[0:1]
	v_mad_u64_u32 v[2:3], s[0:1], v3, s23, v[2:3]
.LBB7_162:
	s_waitcnt lgkmcnt(0)
	global_load_dwordx2 v[1:2], v2, s[18:19]
	s_mov_b32 s0, 0
	s_mov_b32 s1, 0x40140000
                                        ; implicit-def: $vgpr3_vgpr4
	s_waitcnt vmcnt(0)
	v_cmp_ge_f64_e32 vcc, s[0:1], v[1:2]
	s_and_saveexec_b64 s[0:1], vcc
	s_xor_b64 s[0:1], exec, s[0:1]
	s_cbranch_execz .LBB7_172
; %bb.163:
	v_cmp_neq_f64_e32 vcc, 0, v[1:2]
	v_mov_b32_e32 v3, 0
	v_mov_b32_e32 v4, 0xfff00000
	s_and_saveexec_b64 s[2:3], vcc
	s_cbranch_execz .LBB7_171
; %bb.164:
	v_cmp_ngt_f64_e32 vcc, 0, v[1:2]
	v_mov_b32_e32 v3, 0
	v_mov_b32_e32 v4, 0x7ff80000
	s_and_saveexec_b64 s[4:5], vcc
	s_cbranch_execz .LBB7_170
; %bb.165:
	v_mul_f64 v[3:4], v[1:2], v[1:2]
	s_mov_b32 s6, 0x88e368f1
	s_mov_b32 s7, 0x3ee4f8b5
	v_cmp_ngt_f64_e32 vcc, s[6:7], v[1:2]
                                        ; implicit-def: $vgpr5_vgpr6
	v_mul_f64 v[7:8], v[3:4], 0
	s_and_saveexec_b64 s[6:7], vcc
	s_xor_b64 s[6:7], exec, s[6:7]
	s_cbranch_execz .LBB7_167
; %bb.166:
	s_mov_b32 s8, 0xa696b78c
	s_mov_b32 s9, 0x407f3902
	v_add_f64 v[5:6], v[7:8], s[8:9]
	s_mov_b32 s8, 0x36a21a67
	s_mov_b32 s9, 0x410536cb
	s_mov_b32 s12, 0x9444914
	s_mov_b32 s13, 0x4204d5b0
	s_mov_b32 s10, 0xc772990d
	s_mov_b32 s11, 0x427c7751
	s_mov_b32 s14, 0x8c9748e9
	v_fma_f64 v[5:6], v[3:4], v[5:6], s[8:9]
	s_mov_b32 s8, 0x2eac0634
	s_mov_b32 s9, 0x41871934
	;; [unrolled: 1-line block ×3, first 2 shown]
	v_fma_f64 v[5:6], v[3:4], v[5:6], s[8:9]
	s_mov_b32 s8, 0xad1c8325
	s_mov_b32 s9, 0xc1f1dc53
	v_add_f64 v[9:10], v[7:8], s[8:9]
	s_mov_b32 s8, 0xe0d900f7
	s_mov_b32 s9, 0xc2ec5614
	v_fma_f64 v[5:6], v[3:4], v[5:6], s[12:13]
	s_mov_b32 s12, 0x72182e46
	s_mov_b32 s13, 0x427ebeb3
	v_fma_f64 v[9:10], v[3:4], v[9:10], s[10:11]
	s_mov_b32 s10, 0x80462bbb
	s_mov_b32 s11, 0xc01721fb
	v_add_f64 v[11:12], v[3:4], s[10:11]
	s_mov_b32 s10, 0x69ff5fb4
	v_fma_f64 v[5:6], v[3:4], v[5:6], s[12:13]
	s_mov_b32 s12, 0xa621dd6f
	s_mov_b32 s13, 0xc03e78a4
	v_add_f64 v[13:14], v[3:4], s[12:13]
	v_fma_f64 v[9:10], v[3:4], v[9:10], s[8:9]
	s_mov_b32 s8, 0x7e7b2e9c
	s_mov_b32 s9, 0x435c4141
	s_mov_b32 s11, 0x43413ef8
	v_fma_f64 v[5:6], v[3:4], v[5:6], s[14:15]
	v_mul_f64 v[11:12], v[11:12], v[13:14]
	v_fma_f64 v[9:10], v[3:4], v[9:10], s[10:11]
	v_fma_f64 v[5:6], v[3:4], v[5:6], s[8:9]
	s_mov_b32 s8, 0xc7b662cc
	s_mov_b32 s9, 0x43b7be34
	v_mul_f64 v[9:10], v[11:12], v[9:10]
	v_fma_f64 v[5:6], v[3:4], v[5:6], s[8:9]
	v_div_scale_f64 v[11:12], s[8:9], v[5:6], v[5:6], v[9:10]
	v_div_scale_f64 v[17:18], vcc, v[9:10], v[5:6], v[9:10]
	v_rcp_f64_e32 v[13:14], v[11:12]
	v_fma_f64 v[15:16], -v[11:12], v[13:14], 1.0
	v_fma_f64 v[13:14], v[13:14], v[15:16], v[13:14]
	v_fma_f64 v[15:16], -v[11:12], v[13:14], 1.0
	v_fma_f64 v[13:14], v[13:14], v[15:16], v[13:14]
	v_mul_f64 v[15:16], v[17:18], v[13:14]
	v_fma_f64 v[11:12], -v[11:12], v[15:16], v[17:18]
	v_div_fmas_f64 v[11:12], v[11:12], v[13:14], v[15:16]
	v_div_fixup_f64 v[5:6], v[11:12], v[5:6], v[9:10]
.LBB7_167:
	s_andn2_saveexec_b64 s[6:7], s[6:7]
	s_cbranch_execz .LBB7_169
; %bb.168:
	s_mov_b32 s8, 0
	s_mov_b32 s9, 0xbfd00000
	v_fma_f64 v[5:6], v[3:4], s[8:9], 1.0
.LBB7_169:
	s_or_b64 exec, exec, s[6:7]
	v_frexp_mant_f64_e32 v[9:10], v[1:2]
	s_mov_b32 s7, 0x3fe55555
	s_mov_b32 s6, 0x55555555
	;; [unrolled: 1-line block ×7, first 2 shown]
	v_cmp_gt_f64_e32 vcc, s[6:7], v[9:10]
	s_mov_b32 s31, 0x3fcc71c0
	s_mov_b32 s10, 0x32e48896
	;; [unrolled: 1-line block ×7, first 2 shown]
	v_cndmask_b32_e64 v11, 0, 1, vcc
	v_ldexp_f64 v[9:10], v[9:10], v11
	s_mov_b32 s29, 0x42d3ea72
	s_mov_b32 s50, 0x660b4003
	;; [unrolled: 1-line block ×3, first 2 shown]
	v_add_f64 v[11:12], v[9:10], 1.0
	v_add_f64 v[17:18], v[9:10], -1.0
	v_rcp_f64_e32 v[13:14], v[11:12]
	v_add_f64 v[19:20], v[11:12], -1.0
	v_add_f64 v[9:10], v[9:10], -v[19:20]
	v_fma_f64 v[15:16], -v[11:12], v[13:14], 1.0
	v_fma_f64 v[13:14], v[15:16], v[13:14], v[13:14]
	v_fma_f64 v[15:16], -v[11:12], v[13:14], 1.0
	v_fma_f64 v[13:14], v[15:16], v[13:14], v[13:14]
	v_mul_f64 v[15:16], v[17:18], v[13:14]
	v_mul_f64 v[21:22], v[11:12], v[15:16]
	v_fma_f64 v[11:12], v[15:16], v[11:12], -v[21:22]
	v_fma_f64 v[9:10], v[15:16], v[9:10], v[11:12]
	v_add_f64 v[11:12], v[21:22], v[9:10]
	v_add_f64 v[19:20], v[17:18], -v[11:12]
	v_add_f64 v[21:22], v[11:12], -v[21:22]
	;; [unrolled: 1-line block ×5, first 2 shown]
	v_mov_b32_e32 v17, 0x6b47b09a
	v_mov_b32_e32 v18, 0x3fc38538
	v_add_f64 v[9:10], v[9:10], v[11:12]
	v_add_f64 v[9:10], v[19:20], v[9:10]
	v_mul_f64 v[9:10], v[13:14], v[9:10]
	v_add_f64 v[11:12], v[15:16], v[9:10]
	v_mul_f64 v[13:14], v[11:12], v[11:12]
	v_fma_f64 v[17:18], v[13:14], s[8:9], v[17:18]
	s_mov_b32 s8, 0xe896898f
	s_mov_b32 s9, 0x40ce7437
	v_add_f64 v[19:20], v[7:8], s[8:9]
	s_mov_b32 s8, 0x9b27acf1
	s_mov_b32 s9, 0x3fd24924
	v_mul_f64 v[21:22], v[11:12], v[13:14]
	v_fma_f64 v[17:18], v[13:14], v[17:18], s[12:13]
	s_mov_b32 s12, 0xf0284cdd
	s_mov_b32 s13, 0x41f43f78
	v_fma_f64 v[19:20], v[3:4], v[19:20], s[10:11]
	s_mov_b32 s10, 0x5164d101
	s_mov_b32 s11, 0x41b00763
	;; [unrolled: 3-line block ×3, first 2 shown]
	v_fma_f64 v[19:20], v[3:4], v[19:20], s[12:13]
	v_fma_f64 v[17:18], v[13:14], v[17:18], s[8:9]
	s_mov_b32 s8, 0x576dfcb6
	s_mov_b32 s9, 0x40904522
	v_add_f64 v[7:8], v[7:8], s[8:9]
	s_mov_b32 s8, 0x998ef7b6
	s_mov_b32 s9, 0x3fd99999
	v_fma_f64 v[17:18], v[13:14], v[17:18], s[8:9]
	s_mov_b32 s8, 0xa907bc0c
	s_mov_b32 s9, 0x41231b76
	v_fma_f64 v[7:8], v[3:4], v[7:8], s[8:9]
	s_mov_b32 s8, 0xc57e828e
	s_mov_b32 s9, 0x42b275fc
	v_fma_f64 v[13:14], v[13:14], v[17:18], s[6:7]
	v_fma_f64 v[17:18], v[3:4], v[19:20], s[14:15]
	v_ldexp_f64 v[19:20], v[11:12], 1
	v_fma_f64 v[7:8], v[3:4], v[7:8], s[10:11]
	s_mov_b32 s6, 0x2b8664bc
	s_mov_b32 s7, 0x42341ddb
	v_add_f64 v[11:12], v[11:12], -v[15:16]
	s_mov_b32 s10, 0xdfeb596d
	v_mul_f64 v[13:14], v[21:22], v[13:14]
	v_frexp_exp_i32_f64_e32 v21, v[1:2]
	s_mov_b32 s11, 0x43268910
	v_fma_f64 v[1:2], v[3:4], v[7:8], s[6:7]
	v_fma_f64 v[7:8], v[3:4], v[17:18], s[28:29]
	s_mov_b32 s6, 0xfefa39ef
	s_mov_b32 s7, 0x3fe62e42
	v_add_f64 v[9:10], v[9:10], -v[11:12]
	v_add_f64 v[15:16], v[19:20], v[13:14]
	v_subbrev_co_u32_e32 v17, vcc, 0, v21, vcc
	v_cvt_f64_i32_e32 v[17:18], v17
	v_fma_f64 v[1:2], v[3:4], v[1:2], s[8:9]
	v_fma_f64 v[7:8], v[3:4], v[7:8], s[30:31]
	s_mov_b32 s8, 0xbcf9b5d0
	v_mul_f64 v[21:22], v[17:18], s[6:7]
	v_add_f64 v[11:12], v[15:16], -v[19:20]
	v_ldexp_f64 v[9:10], v[9:10], 1
	s_mov_b32 s9, 0x438bd25f
	v_fma_f64 v[1:2], v[3:4], v[1:2], s[10:11]
	v_fma_f64 v[7:8], v[3:4], v[7:8], s[50:51]
	v_fma_f64 v[19:20], v[17:18], s[6:7], -v[21:22]
	v_add_f64 v[11:12], v[13:14], -v[11:12]
	s_mov_b32 s6, 0x5906367b
	s_mov_b32 s7, 0xc3506d4b
	v_fma_f64 v[1:2], v[3:4], v[1:2], s[8:9]
	v_fma_f64 v[3:4], v[3:4], v[7:8], s[6:7]
	s_mov_b32 s6, 0x3b39803f
	s_mov_b32 s7, 0x3c7abc9e
	v_fma_f64 v[7:8], v[17:18], s[6:7], v[19:20]
	v_add_f64 v[9:10], v[9:10], v[11:12]
	v_div_scale_f64 v[11:12], s[6:7], v[1:2], v[1:2], v[3:4]
	s_mov_b32 s6, 0x6dc9c883
	v_add_f64 v[13:14], v[21:22], v[7:8]
	v_add_f64 v[17:18], v[15:16], v[9:10]
	s_mov_b32 s7, 0x3fe45f30
	v_add_f64 v[21:22], v[13:14], -v[21:22]
	v_add_f64 v[19:20], v[13:14], v[17:18]
	v_add_f64 v[15:16], v[17:18], -v[15:16]
	v_rcp_f64_e32 v[23:24], v[11:12]
	v_add_f64 v[7:8], v[7:8], -v[21:22]
	v_add_f64 v[25:26], v[19:20], -v[13:14]
	;; [unrolled: 1-line block ×5, first 2 shown]
	v_add_f64 v[21:22], v[7:8], v[9:10]
	v_fma_f64 v[30:31], -v[11:12], v[23:24], 1.0
	v_add_f64 v[13:14], v[13:14], -v[28:29]
	v_add_f64 v[25:26], v[21:22], -v[7:8]
	v_fma_f64 v[17:18], v[23:24], v[30:31], v[23:24]
	v_div_scale_f64 v[23:24], vcc, v[3:4], v[1:2], v[3:4]
	v_add_f64 v[13:14], v[15:16], v[13:14]
	v_add_f64 v[9:10], v[9:10], -v[25:26]
	v_fma_f64 v[15:16], -v[11:12], v[17:18], 1.0
	v_add_f64 v[13:14], v[21:22], v[13:14]
	v_fma_f64 v[15:16], v[17:18], v[15:16], v[17:18]
	v_add_f64 v[17:18], v[21:22], -v[25:26]
	v_add_f64 v[21:22], v[19:20], v[13:14]
	v_mul_f64 v[28:29], v[23:24], v[15:16]
	v_add_f64 v[7:8], v[7:8], -v[17:18]
	v_add_f64 v[17:18], v[21:22], -v[19:20]
	v_fma_f64 v[11:12], -v[11:12], v[28:29], v[23:24]
	v_add_f64 v[7:8], v[9:10], v[7:8]
	v_add_f64 v[9:10], v[13:14], -v[17:18]
	v_div_fmas_f64 v[11:12], v[11:12], v[15:16], v[28:29]
	v_add_f64 v[7:8], v[7:8], v[9:10]
	v_add_f64 v[7:8], v[21:22], v[7:8]
	v_div_fixup_f64 v[1:2], v[11:12], v[1:2], v[3:4]
	v_mul_f64 v[3:4], v[7:8], s[6:7]
	v_fma_f64 v[3:4], v[3:4], v[5:6], v[1:2]
.LBB7_170:
	s_or_b64 exec, exec, s[4:5]
.LBB7_171:
	s_or_b64 exec, exec, s[2:3]
                                        ; implicit-def: $vgpr1_vgpr2
.LBB7_172:
	s_andn2_saveexec_b64 s[6:7], s[0:1]
	s_cbranch_execz .LBB7_182
; %bb.173:
	s_mov_b32 s5, 0xbfe921fb
	s_mov_b32 s4, 0x54442d18
	v_add_f64 v[3:4], v[1:2], s[4:5]
	s_mov_b32 s0, 0
	s_mov_b32 s1, 0x41d00000
                                        ; implicit-def: $vgpr28
                                        ; implicit-def: $vgpr5_vgpr6
                                        ; implicit-def: $vgpr7_vgpr8
	v_cmp_nlt_f64_e64 s[2:3], |v[3:4]|, s[0:1]
	s_and_saveexec_b64 s[0:1], s[2:3]
	s_xor_b64 s[8:9], exec, s[0:1]
	s_cbranch_execz .LBB7_175
; %bb.174:
	v_trig_preop_f64 v[5:6], |v[3:4]|, 0
	s_mov_b32 s0, 0
	s_mov_b32 s1, 0x7b000000
	s_movk_i32 s5, 0xff80
	v_ldexp_f64 v[9:10], |v[3:4]|, s5
	v_cmp_ge_f64_e64 vcc, |v[3:4]|, s[0:1]
	v_trig_preop_f64 v[7:8], |v[3:4]|, 1
	v_and_b32_e32 v11, 0x7fffffff, v4
	v_trig_preop_f64 v[17:18], |v[3:4]|, 2
	s_mov_b32 s0, 0
	s_mov_b32 s1, 0x7ff00000
	v_mov_b32_e32 v28, 0x40100000
	v_mov_b32_e32 v29, 0
	v_cndmask_b32_e32 v10, v11, v10, vcc
	v_cndmask_b32_e32 v9, v3, v9, vcc
	s_mov_b32 s5, 0x3ff921fb
	v_mul_f64 v[11:12], v[5:6], v[9:10]
	v_mul_f64 v[13:14], v[7:8], v[9:10]
	;; [unrolled: 1-line block ×3, first 2 shown]
	v_fma_f64 v[5:6], v[5:6], v[9:10], -v[11:12]
	v_fma_f64 v[7:8], v[7:8], v[9:10], -v[13:14]
	;; [unrolled: 1-line block ×3, first 2 shown]
	v_add_f64 v[15:16], v[13:14], v[5:6]
	v_add_f64 v[19:20], v[15:16], -v[13:14]
	v_add_f64 v[25:26], v[11:12], v[15:16]
	v_add_f64 v[21:22], v[15:16], -v[19:20]
	v_add_f64 v[5:6], v[5:6], -v[19:20]
	v_add_f64 v[19:20], v[23:24], v[7:8]
	v_add_f64 v[11:12], v[25:26], -v[11:12]
	v_add_f64 v[13:14], v[13:14], -v[21:22]
	v_ldexp_f64 v[21:22], v[25:26], -2
	v_add_f64 v[31:32], v[19:20], -v[23:24]
	v_add_f64 v[11:12], v[15:16], -v[11:12]
	v_add_f64 v[5:6], v[5:6], v[13:14]
	v_fract_f64_e32 v[13:14], v[21:22]
	v_cmp_neq_f64_e64 vcc, |v[21:22]|, s[0:1]
	v_add_f64 v[7:8], v[7:8], -v[31:32]
	v_add_f64 v[15:16], v[19:20], v[5:6]
	v_ldexp_f64 v[13:14], v[13:14], 2
	v_add_f64 v[21:22], v[11:12], v[15:16]
	v_cndmask_b32_e32 v14, 0, v14, vcc
	v_cndmask_b32_e32 v13, 0, v13, vcc
	v_add_f64 v[33:34], v[15:16], -v[19:20]
	v_add_f64 v[25:26], v[21:22], v[13:14]
	v_add_f64 v[11:12], v[21:22], -v[11:12]
	v_add_f64 v[35:36], v[15:16], -v[33:34]
	;; [unrolled: 1-line block ×3, first 2 shown]
	v_cmp_gt_f64_e32 vcc, 0, v[25:26]
	v_add_f64 v[25:26], v[19:20], -v[31:32]
	v_add_f64 v[11:12], v[15:16], -v[11:12]
	;; [unrolled: 1-line block ×3, first 2 shown]
	v_cndmask_b32_e32 v30, 0, v28, vcc
	v_add_f64 v[13:14], v[13:14], v[29:30]
	v_add_f64 v[25:26], v[23:24], -v[25:26]
	v_add_f64 v[5:6], v[5:6], v[19:20]
	v_add_f64 v[37:38], v[21:22], v[13:14]
	;; [unrolled: 1-line block ×3, first 2 shown]
	v_cvt_i32_f64_e32 v28, v[37:38]
	v_add_f64 v[5:6], v[7:8], v[5:6]
	v_cvt_f64_i32_e32 v[30:31], v28
	v_add_f64 v[13:14], v[13:14], -v[30:31]
	v_add_f64 v[5:6], v[9:10], v[5:6]
	v_add_f64 v[7:8], v[21:22], v[13:14]
	v_add_f64 v[5:6], v[11:12], v[5:6]
	v_mov_b32_e32 v11, 0x3ff00000
	v_add_f64 v[9:10], v[7:8], -v[13:14]
	v_cmp_le_f64_e32 vcc, 0.5, v[7:8]
	v_add_f64 v[9:10], v[21:22], -v[9:10]
	v_cndmask_b32_e32 v30, 0, v11, vcc
	v_add_f64 v[7:8], v[7:8], -v[29:30]
	v_addc_co_u32_e64 v28, s[0:1], 0, v28, vcc
	s_mov_b32 s0, 0x33145c07
	s_mov_b32 s1, 0x3c91a626
	v_add_f64 v[5:6], v[5:6], v[9:10]
	v_add_f64 v[9:10], v[7:8], v[5:6]
	v_mul_f64 v[11:12], v[9:10], s[4:5]
	v_add_f64 v[7:8], v[9:10], -v[7:8]
	v_fma_f64 v[13:14], v[9:10], s[4:5], -v[11:12]
	v_add_f64 v[5:6], v[5:6], -v[7:8]
	v_fma_f64 v[7:8], v[9:10], s[0:1], v[13:14]
	v_fma_f64 v[7:8], v[5:6], s[4:5], v[7:8]
	v_add_f64 v[5:6], v[11:12], v[7:8]
	v_add_f64 v[9:10], v[5:6], -v[11:12]
	v_add_f64 v[7:8], v[7:8], -v[9:10]
	s_andn2_saveexec_b64 s[0:1], s[8:9]
	s_cbranch_execz .LBB7_177
	s_branch .LBB7_176
.LBB7_175:
	s_andn2_saveexec_b64 s[0:1], s[8:9]
	s_cbranch_execz .LBB7_177
.LBB7_176:
	s_mov_b32 s4, 0x6dc9c883
	s_mov_b32 s5, 0x3fe45f30
	v_mul_f64 v[5:6], |v[3:4]|, s[4:5]
	s_mov_b32 s4, 0x54442d18
	s_mov_b32 s5, 0xbff921fb
	;; [unrolled: 1-line block ×4, first 2 shown]
	v_rndne_f64_e32 v[9:10], v[5:6]
	v_fma_f64 v[5:6], v[9:10], s[4:5], |v[3:4]|
	v_mul_f64 v[7:8], v[9:10], s[8:9]
	s_mov_b32 s4, 0x252049c0
	s_mov_b32 s5, 0xb97b839a
	v_cvt_i32_f64_e32 v28, v[9:10]
	v_fma_f64 v[15:16], v[9:10], s[8:9], v[5:6]
	v_add_f64 v[11:12], v[5:6], v[7:8]
	s_mov_b32 s9, 0x3c91a626
	v_add_f64 v[13:14], v[5:6], -v[11:12]
	v_add_f64 v[11:12], v[11:12], -v[15:16]
	v_add_f64 v[5:6], v[13:14], v[7:8]
	v_fma_f64 v[7:8], v[9:10], s[8:9], v[7:8]
	v_add_f64 v[5:6], v[11:12], v[5:6]
	v_add_f64 v[5:6], v[5:6], -v[7:8]
	v_fma_f64 v[7:8], v[9:10], s[4:5], v[5:6]
	v_add_f64 v[5:6], v[15:16], v[7:8]
	v_add_f64 v[11:12], v[5:6], -v[15:16]
	v_add_f64 v[7:8], v[7:8], -v[11:12]
.LBB7_177:
	s_or_b64 exec, exec, s[0:1]
                                        ; implicit-def: $vgpr29
                                        ; implicit-def: $vgpr9_vgpr10
                                        ; implicit-def: $vgpr11_vgpr12
	s_and_saveexec_b64 s[0:1], s[2:3]
	s_xor_b64 s[2:3], exec, s[0:1]
	s_cbranch_execz .LBB7_179
; %bb.178:
	v_trig_preop_f64 v[9:10], |v[3:4]|, 0
	s_mov_b32 s0, 0
	s_mov_b32 s1, 0x7b000000
	s_movk_i32 s4, 0xff80
	v_ldexp_f64 v[13:14], |v[3:4]|, s4
	v_cmp_ge_f64_e64 vcc, |v[3:4]|, s[0:1]
	v_trig_preop_f64 v[11:12], |v[3:4]|, 1
	v_and_b32_e32 v15, 0x7fffffff, v4
	v_trig_preop_f64 v[21:22], |v[3:4]|, 2
	s_mov_b32 s0, 0
	s_mov_b32 s1, 0x7ff00000
	v_mov_b32_e32 v34, 0x40100000
	v_mov_b32_e32 v33, 0
	v_cndmask_b32_e32 v14, v15, v14, vcc
	v_cndmask_b32_e32 v13, v3, v13, vcc
	s_mov_b32 s4, 0x33145c07
	v_mul_f64 v[15:16], v[9:10], v[13:14]
	s_mov_b32 s5, 0x3c91a626
	v_mul_f64 v[17:18], v[11:12], v[13:14]
	v_mul_f64 v[29:30], v[21:22], v[13:14]
	v_fma_f64 v[9:10], v[9:10], v[13:14], -v[15:16]
	v_fma_f64 v[11:12], v[11:12], v[13:14], -v[17:18]
	;; [unrolled: 1-line block ×3, first 2 shown]
	v_add_f64 v[19:20], v[17:18], v[9:10]
	v_add_f64 v[23:24], v[19:20], -v[17:18]
	v_add_f64 v[31:32], v[15:16], v[19:20]
	v_add_f64 v[25:26], v[19:20], -v[23:24]
	v_add_f64 v[9:10], v[9:10], -v[23:24]
	v_add_f64 v[23:24], v[29:30], v[11:12]
	v_add_f64 v[15:16], v[31:32], -v[15:16]
	v_add_f64 v[17:18], v[17:18], -v[25:26]
	v_ldexp_f64 v[25:26], v[31:32], -2
	v_add_f64 v[35:36], v[23:24], -v[29:30]
	v_add_f64 v[15:16], v[19:20], -v[15:16]
	v_add_f64 v[9:10], v[9:10], v[17:18]
	v_fract_f64_e32 v[17:18], v[25:26]
	v_cmp_neq_f64_e64 vcc, |v[25:26]|, s[0:1]
	v_add_f64 v[11:12], v[11:12], -v[35:36]
	v_add_f64 v[19:20], v[23:24], v[9:10]
	v_ldexp_f64 v[17:18], v[17:18], 2
	v_add_f64 v[25:26], v[15:16], v[19:20]
	v_cndmask_b32_e32 v18, 0, v18, vcc
	v_cndmask_b32_e32 v17, 0, v17, vcc
	v_add_f64 v[37:38], v[19:20], -v[23:24]
	v_add_f64 v[31:32], v[25:26], v[17:18]
	v_add_f64 v[15:16], v[25:26], -v[15:16]
	v_add_f64 v[39:40], v[19:20], -v[37:38]
	;; [unrolled: 1-line block ×3, first 2 shown]
	v_cmp_gt_f64_e32 vcc, 0, v[31:32]
	v_add_f64 v[31:32], v[23:24], -v[35:36]
	v_add_f64 v[15:16], v[19:20], -v[15:16]
	;; [unrolled: 1-line block ×3, first 2 shown]
	v_cndmask_b32_e32 v34, 0, v34, vcc
	v_add_f64 v[17:18], v[17:18], v[33:34]
	v_add_f64 v[31:32], v[29:30], -v[31:32]
	v_add_f64 v[9:10], v[9:10], v[23:24]
	v_add_f64 v[41:42], v[25:26], v[17:18]
	;; [unrolled: 1-line block ×3, first 2 shown]
	v_cvt_i32_f64_e32 v36, v[41:42]
	v_add_f64 v[9:10], v[11:12], v[9:10]
	v_cvt_f64_i32_e32 v[34:35], v36
	v_add_f64 v[17:18], v[17:18], -v[34:35]
	v_add_f64 v[9:10], v[13:14], v[9:10]
	v_add_f64 v[11:12], v[25:26], v[17:18]
	;; [unrolled: 1-line block ×3, first 2 shown]
	v_mov_b32_e32 v15, 0x3ff00000
	v_add_f64 v[13:14], v[11:12], -v[17:18]
	v_cmp_le_f64_e32 vcc, 0.5, v[11:12]
	v_add_f64 v[13:14], v[25:26], -v[13:14]
	v_cndmask_b32_e32 v34, 0, v15, vcc
	v_add_f64 v[11:12], v[11:12], -v[33:34]
	v_addc_co_u32_e64 v29, s[0:1], 0, v36, vcc
	s_mov_b32 s0, 0x54442d18
	s_mov_b32 s1, 0x3ff921fb
	v_add_f64 v[9:10], v[9:10], v[13:14]
	v_add_f64 v[13:14], v[11:12], v[9:10]
	v_mul_f64 v[15:16], v[13:14], s[0:1]
	v_add_f64 v[11:12], v[13:14], -v[11:12]
	v_fma_f64 v[17:18], v[13:14], s[0:1], -v[15:16]
	v_add_f64 v[9:10], v[9:10], -v[11:12]
	v_fma_f64 v[11:12], v[13:14], s[4:5], v[17:18]
	v_fma_f64 v[11:12], v[9:10], s[0:1], v[11:12]
	v_add_f64 v[9:10], v[15:16], v[11:12]
	v_add_f64 v[13:14], v[9:10], -v[15:16]
	v_add_f64 v[11:12], v[11:12], -v[13:14]
	s_andn2_saveexec_b64 s[0:1], s[2:3]
	s_cbranch_execnz .LBB7_180
	s_branch .LBB7_181
.LBB7_179:
	s_andn2_saveexec_b64 s[0:1], s[2:3]
	s_cbranch_execz .LBB7_181
.LBB7_180:
	s_mov_b32 s2, 0x6dc9c883
	s_mov_b32 s3, 0x3fe45f30
	v_mul_f64 v[9:10], |v[3:4]|, s[2:3]
	s_mov_b32 s2, 0x54442d18
	s_mov_b32 s3, 0xbff921fb
	;; [unrolled: 1-line block ×4, first 2 shown]
	v_rndne_f64_e32 v[13:14], v[9:10]
	v_fma_f64 v[9:10], v[13:14], s[2:3], |v[3:4]|
	v_mul_f64 v[11:12], v[13:14], s[4:5]
	s_mov_b32 s2, 0x252049c0
	s_mov_b32 s3, 0xb97b839a
	v_cvt_i32_f64_e32 v29, v[13:14]
	v_fma_f64 v[19:20], v[13:14], s[4:5], v[9:10]
	v_add_f64 v[15:16], v[9:10], v[11:12]
	s_mov_b32 s5, 0x3c91a626
	v_add_f64 v[17:18], v[9:10], -v[15:16]
	v_add_f64 v[15:16], v[15:16], -v[19:20]
	v_add_f64 v[9:10], v[17:18], v[11:12]
	v_fma_f64 v[11:12], v[13:14], s[4:5], v[11:12]
	v_add_f64 v[9:10], v[15:16], v[9:10]
	v_add_f64 v[9:10], v[9:10], -v[11:12]
	v_fma_f64 v[11:12], v[13:14], s[2:3], v[9:10]
	v_add_f64 v[9:10], v[19:20], v[11:12]
	v_add_f64 v[15:16], v[9:10], -v[19:20]
	v_add_f64 v[11:12], v[11:12], -v[15:16]
.LBB7_181:
	s_or_b64 exec, exec, s[0:1]
	v_mul_f64 v[13:14], v[1:2], v[1:2]
	s_mov_b32 s10, 0
	s_mov_b32 s11, 0x40390000
	;; [unrolled: 1-line block ×7, first 2 shown]
	v_div_scale_f64 v[15:16], s[0:1], v[13:14], v[13:14], s[10:11]
	s_mov_b32 s28, 0xc9b3069f
	s_mov_b32 s9, 0x3ff3d521
	s_mov_b32 s29, 0x3ff40e72
	s_mov_b32 s4, 0xe97a0956
	s_mov_b32 s30, 0xe68162bb
	s_mov_b32 s5, 0x4015c9fb
	s_mov_b32 s31, 0x4015e247
	s_mov_b32 s2, 0x69409888
	s_mov_b32 s3, 0x40217e8c
	s_mov_b32 s0, 0xa59425a1
	s_mov_b32 s50, 0xed423a19
	s_mov_b32 s1, 0x40153684
	s_mov_b32 s51, 0x40153965
	s_mov_b32 s60, 0
	v_rcp_f64_e32 v[17:18], v[15:16]
	s_brev_b32 s61, 8
	s_mov_b32 s58, 0xb42fdfa7
	s_mov_b32 s59, 0xbe5ae600
	v_mov_b32_e32 v54, s58
	v_mov_b32_e32 v55, s59
	;; [unrolled: 1-line block ×3, first 2 shown]
	s_mov_b32 s52, 0x19e83e5c
	s_mov_b32 s53, 0xbf2a01a0
	v_and_b32_e32 v62, 1, v28
	v_fma_f64 v[19:20], -v[15:16], v[17:18], 1.0
	v_fma_f64 v[17:18], v[17:18], v[19:20], v[17:18]
	v_div_scale_f64 v[19:20], vcc, s[10:11], v[13:14], s[10:11]
	v_fma_f64 v[21:22], -v[15:16], v[17:18], 1.0
	v_fma_f64 v[17:18], v[17:18], v[21:22], v[17:18]
	v_mul_f64 v[21:22], v[19:20], v[17:18]
	v_fma_f64 v[15:16], -v[15:16], v[21:22], v[19:20]
	v_div_fmas_f64 v[15:16], v[15:16], v[17:18], v[21:22]
	v_mov_b32_e32 v17, 0x983b6b27
	v_mov_b32_e32 v18, 0x3f4a1d30
	;; [unrolled: 1-line block ×4, first 2 shown]
	v_div_fixup_f64 v[19:20], v[15:16], v[13:14], s[10:11]
	s_mov_b32 s10, 0xea1b21a1
	s_mov_b32 s11, 0x40218618
	v_fma_f64 v[13:14], v[19:20], 0, v[21:22]
	v_fma_f64 v[15:16], v[19:20], 0, v[17:18]
	v_mov_b32_e32 v17, 0x38a5384a
	v_mov_b32_e32 v18, 0xbf874742
	v_fma_f64 v[17:18], v[19:20], 0, v[17:18]
	v_mov_b32_e32 v21, 0x413c25ac
	v_mov_b32_e32 v22, 0x40501457
	v_fma_f64 v[21:22], v[19:20], 0, v[21:22]
	v_fma_f64 v[13:14], v[19:20], v[13:14], s[14:15]
	v_fma_f64 v[15:16], v[19:20], v[15:16], s[12:13]
	s_mov_b32 s12, 0x3a321174
	s_mov_b32 s13, 0xbff4853b
	v_fma_f64 v[17:18], v[19:20], v[17:18], s[12:13]
	s_mov_b32 s12, 0xb1759c7f
	s_mov_b32 s13, 0x408ac370
	v_fma_f64 v[21:22], v[19:20], v[21:22], s[12:13]
	v_fma_f64 v[13:14], v[19:20], v[13:14], s[28:29]
	v_fma_f64 v[15:16], v[19:20], v[15:16], s[8:9]
	s_mov_b32 s8, 0xf50e2c0c
	s_mov_b32 s9, 0xc0338dcf
	v_fma_f64 v[17:18], v[19:20], v[17:18], s[8:9]
	s_mov_b32 s8, 0xbd748cb5
	s_mov_b32 s9, 0x40ae54cd
	;; [unrolled: 8-line block ×5, first 2 shown]
	s_mov_b32 s1, 0xc049b48c
	v_fma_f64 v[13:14], v[19:20], v[13:14], 1.0
	v_fma_f64 v[15:16], v[19:20], v[15:16], 1.0
	s_mov_b32 s3, 0x40a01c2f
	v_fma_f64 v[23:24], v[19:20], v[21:22], s[2:3]
	v_fma_f64 v[25:26], v[19:20], v[17:18], s[0:1]
	s_mov_b32 s2, 0x6280a54
	s_mov_b32 s8, 0
	;; [unrolled: 1-line block ×4, first 2 shown]
	v_div_scale_f64 v[21:22], s[0:1], v[13:14], v[13:14], v[15:16]
	s_mov_b32 s0, 0xd1b9a1dd
	s_mov_b32 s1, 0xc0183358
	v_fma_f64 v[17:18], v[19:20], v[23:24], s[2:3]
	v_fma_f64 v[19:20], v[19:20], v[25:26], s[0:1]
	v_div_scale_f64 v[25:26], s[0:1], v[1:2], v[1:2], s[8:9]
	v_div_scale_f64 v[40:41], vcc, v[15:16], v[13:14], v[15:16]
	v_mul_f64 v[23:24], v[5:6], v[5:6]
	s_mov_b32 s30, 0xf9a43bb8
	s_mov_b32 s31, 0x3de5e0b2
	v_div_scale_f64 v[30:31], s[0:1], v[17:18], v[17:18], v[19:20]
	v_div_scale_f64 v[48:49], s[4:5], v[19:20], v[17:18], v[19:20]
	v_rcp_f64_e32 v[32:33], v[21:22]
	s_mov_b32 s0, 0x9037ab78
	s_mov_b32 s1, 0x3e21eeb6
	v_fma_f64 v[58:59], v[23:24], s[30:31], v[54:55]
	s_mov_b32 s28, 0x46cc5e42
	v_rcp_f64_e32 v[34:35], v[25:26]
	s_mov_b32 s50, 0x796cde01
	s_mov_b32 s29, 0xbda907db
	;; [unrolled: 1-line block ×6, first 2 shown]
	v_rcp_f64_e32 v[36:37], v[30:31]
	s_mov_b32 s15, 0x3f811111
	s_mov_b32 s10, 0x19f4ec90
	;; [unrolled: 1-line block ×3, first 2 shown]
	v_fma_f64 v[38:39], -v[21:22], v[32:33], 1.0
	v_fma_f64 v[32:33], v[32:33], v[38:39], v[32:33]
	v_fma_f64 v[38:39], -v[25:26], v[34:35], 1.0
	v_fma_f64 v[42:43], -v[30:31], v[36:37], 1.0
	;; [unrolled: 1-line block ×3, first 2 shown]
	v_fma_f64 v[34:35], v[34:35], v[38:39], v[34:35]
	v_mul_f64 v[38:39], v[7:8], 0.5
	v_fma_f64 v[36:37], v[36:37], v[42:43], v[36:37]
	v_mul_f64 v[42:43], v[9:10], v[9:10]
	v_fma_f64 v[32:33], v[32:33], v[44:45], v[32:33]
	v_div_scale_f64 v[44:45], s[2:3], s[8:9], v[1:2], s[8:9]
	v_fma_f64 v[46:47], -v[25:26], v[34:35], 1.0
	v_fma_f64 v[50:51], -v[30:31], v[36:37], 1.0
	v_fma_f64 v[54:55], v[42:43], s[30:31], v[54:55]
	v_mul_f64 v[52:53], v[40:41], v[32:33]
	v_fma_f64 v[34:35], v[34:35], v[46:47], v[34:35]
	v_mov_b32_e32 v47, s1
	v_mov_b32_e32 v46, s0
	v_fma_f64 v[36:37], v[36:37], v[50:51], v[36:37]
	v_cmp_gt_f64_e64 s[0:1], s[60:61], v[1:2]
	v_fma_f64 v[21:22], -v[21:22], v[52:53], v[40:41]
	v_mul_f64 v[50:51], v[44:45], v[34:35]
	v_mul_f64 v[60:61], v[48:49], v[36:37]
	v_cndmask_b32_e64 v40, 0, v56, s[0:1]
	v_mul_f64 v[56:57], v[23:24], 0.5
	v_div_fmas_f64 v[21:22], v[21:22], v[32:33], v[52:53]
	v_mul_f64 v[32:33], v[42:43], 0.5
	v_fma_f64 v[25:26], -v[25:26], v[50:51], v[44:45]
	v_ldexp_f64 v[40:41], v[1:2], v40
	v_fma_f64 v[52:53], v[23:24], s[28:29], v[46:47]
	v_fma_f64 v[44:45], v[42:43], s[28:29], v[46:47]
	;; [unrolled: 1-line block ×3, first 2 shown]
	s_mov_b64 vcc, s[2:3]
	v_add_f64 v[58:59], -v[56:57], 1.0
	v_fma_f64 v[30:31], -v[30:31], v[60:61], v[48:49]
	v_add_f64 v[48:49], -v[32:33], 1.0
	v_div_fmas_f64 v[25:26], v[25:26], v[34:35], v[50:51]
	v_fma_f64 v[50:51], v[42:43], v[54:55], s[50:51]
	v_rsq_f64_e32 v[34:35], v[40:41]
	v_fma_f64 v[46:47], v[23:24], v[46:47], s[52:53]
	s_mov_b64 vcc, s[4:5]
	v_add_f64 v[54:55], -v[58:59], 1.0
	v_div_fmas_f64 v[30:31], v[30:31], v[36:37], v[60:61]
	v_add_f64 v[36:37], -v[48:49], 1.0
	v_fma_f64 v[52:53], v[23:24], v[52:53], s[12:13]
	v_fma_f64 v[50:51], v[42:43], v[50:51], s[52:53]
	;; [unrolled: 1-line block ×3, first 2 shown]
	v_mul_f64 v[60:61], v[5:6], -v[23:24]
	v_fma_f64 v[46:47], v[23:24], v[46:47], s[14:15]
	v_add_f64 v[54:55], v[54:55], -v[56:57]
	v_mul_f64 v[56:57], v[11:12], 0.5
	v_add_f64 v[32:33], v[36:37], -v[32:33]
	v_mul_f64 v[36:37], v[9:10], -v[42:43]
	v_fma_f64 v[50:51], v[42:43], v[50:51], s[14:15]
	v_fma_f64 v[52:53], v[23:24], v[52:53], s[10:11]
	;; [unrolled: 1-line block ×4, first 2 shown]
	v_mul_f64 v[46:47], v[40:41], v[34:35]
	v_mul_f64 v[34:35], v[34:35], 0.5
	s_mov_b32 s2, 0x16c16967
	s_mov_b32 s3, 0xbf56c16c
	v_fma_f64 v[50:51], v[36:37], v[50:51], v[56:57]
	v_fma_f64 v[52:53], v[23:24], v[52:53], s[2:3]
	;; [unrolled: 1-line block ×3, first 2 shown]
	v_fma_f64 v[54:55], v[5:6], -v[7:8], v[54:55]
	v_fma_f64 v[7:8], v[23:24], v[38:39], -v[7:8]
	v_fma_f64 v[56:57], -v[34:35], v[46:47], 0.5
	s_mov_b32 s4, 0x55555555
	s_mov_b32 s5, 0x3fa55555
	v_fma_f64 v[50:51], v[42:43], v[50:51], -v[11:12]
	v_fma_f64 v[38:39], v[23:24], v[52:53], s[4:5]
	v_mul_f64 v[23:24], v[23:24], v[23:24]
	v_fma_f64 v[44:45], v[42:43], v[44:45], s[4:5]
	v_mul_f64 v[42:43], v[42:43], v[42:43]
	v_fma_f64 v[11:12], v[9:10], -v[11:12], v[32:33]
	s_mov_b32 s11, 0xbfc55555
	v_fma_f64 v[46:47], v[46:47], v[56:57], v[46:47]
	s_mov_b32 s10, s4
	v_fma_f64 v[7:8], v[60:61], s[10:11], v[7:8]
	v_fma_f64 v[36:37], v[36:37], s[10:11], v[50:51]
	v_fma_f64 v[23:24], v[23:24], v[38:39], v[54:55]
	v_fma_f64 v[32:33], v[34:35], v[56:57], v[34:35]
	v_fma_f64 v[11:12], v[42:43], v[44:45], v[11:12]
	v_div_fixup_f64 v[1:2], v[25:26], v[1:2], s[8:9]
	v_fma_f64 v[34:35], -v[46:47], v[46:47], v[40:41]
	s_movk_i32 s2, 0x1f8
	v_add_f64 v[5:6], v[5:6], -v[7:8]
	v_add_f64 v[7:8], v[9:10], -v[36:37]
	v_div_fixup_f64 v[9:10], v[30:31], v[17:18], v[19:20]
	v_add_f64 v[23:24], v[58:59], v[23:24]
	v_add_f64 v[11:12], v[48:49], v[11:12]
	v_cmp_class_f64_e64 s[2:3], v[3:4], s2
	v_fma_f64 v[34:35], v[34:35], v[32:33], v[46:47]
	v_and_b32_e32 v39, 1, v29
	v_cmp_eq_u32_e32 vcc, 0, v62
	v_lshlrev_b32_e32 v29, 30, v29
	v_mul_f64 v[1:2], v[1:2], v[9:10]
	v_cndmask_b32_e32 v5, v23, v5, vcc
	v_xor_b32_e32 v8, 0x80000000, v8
	v_cmp_eq_u32_e64 s[4:5], 0, v39
	v_and_b32_e32 v19, 0x80000000, v29
	v_cndmask_b32_e64 v3, 0, v5, s[2:3]
	v_cndmask_b32_e64 v5, v8, v12, s[4:5]
	v_mov_b32_e32 v38, 0x7ff80000
	v_cndmask_b32_e64 v7, v7, v11, s[4:5]
	v_xor_b32_e32 v5, v5, v19
	v_fma_f64 v[17:18], -v[34:35], v[34:35], v[40:41]
	v_cndmask_b32_e64 v7, 0, v7, s[2:3]
	v_cndmask_b32_e64 v8, v38, v5, s[2:3]
	v_div_fixup_f64 v[9:10], v[21:22], v[13:14], v[15:16]
	v_mul_f64 v[1:2], v[1:2], v[7:8]
	v_lshlrev_b32_e32 v5, 30, v28
	v_xor_b32_e32 v4, v5, v4
	v_and_b32_e32 v4, 0x80000000, v4
	v_cndmask_b32_e32 v7, v24, v6, vcc
	v_xor_b32_e32 v4, v7, v4
	v_fma_f64 v[5:6], v[17:18], v[32:33], v[34:35]
	v_cndmask_b32_e64 v4, v38, v4, s[2:3]
	v_fma_f64 v[1:2], v[9:10], v[3:4], v[1:2]
	v_mov_b32_e32 v3, 0xffffff80
	s_mov_b32 s2, 0x33d43651
	v_mov_b32_e32 v7, 0x260
	v_cndmask_b32_e64 v3, 0, v3, s[0:1]
	s_mov_b32 s3, 0x3fe98845
	v_ldexp_f64 v[3:4], v[5:6], v3
	v_cmp_class_f64_e32 vcc, v[40:41], v7
	v_mul_f64 v[1:2], v[1:2], s[2:3]
	v_cndmask_b32_e32 v4, v4, v41, vcc
	v_cndmask_b32_e32 v3, v3, v40, vcc
	v_div_scale_f64 v[5:6], s[0:1], v[3:4], v[3:4], v[1:2]
	v_div_scale_f64 v[11:12], vcc, v[1:2], v[3:4], v[1:2]
	v_rcp_f64_e32 v[7:8], v[5:6]
	v_fma_f64 v[9:10], -v[5:6], v[7:8], 1.0
	v_fma_f64 v[7:8], v[7:8], v[9:10], v[7:8]
	v_fma_f64 v[9:10], -v[5:6], v[7:8], 1.0
	v_fma_f64 v[7:8], v[7:8], v[9:10], v[7:8]
	v_mul_f64 v[9:10], v[11:12], v[7:8]
	v_fma_f64 v[5:6], -v[5:6], v[9:10], v[11:12]
	v_div_fmas_f64 v[5:6], v[5:6], v[7:8], v[9:10]
	v_div_fixup_f64 v[3:4], v[5:6], v[3:4], v[1:2]
.LBB7_182:
	s_or_b64 exec, exec, s[6:7]
	v_add_u32_e32 v27, 0x80, v27
	global_store_dwordx2 v0, v[3:4], s[16:17]
	s_or_b64 exec, exec, s[48:49]
	v_cmp_gt_i32_e32 vcc, s55, v27
	s_and_saveexec_b64 s[48:49], vcc
	s_cbranch_execnz .LBB7_15
.LBB7_183:
	s_or_b64 exec, exec, s[48:49]
	v_cmp_gt_i32_e32 vcc, s55, v27
	s_and_saveexec_b64 s[48:49], vcc
	s_cbranch_execz .LBB7_219
.LBB7_184:
	s_andn2_b64 vcc, exec, s[36:37]
	s_cbranch_vccnz .LBB7_189
; %bb.185:
	s_andn2_b64 vcc, exec, s[46:47]
	s_cbranch_vccnz .LBB7_190
; %bb.186:
	s_add_i32 s58, s56, 1
	s_cmp_eq_u32 s54, 2
	s_cbranch_scc1 .LBB7_222
; %bb.187:
	s_and_b32 s57, s58, 28
	v_mov_b32_e32 v2, 0
	s_mov_b32 s59, 0
	s_mov_b64 s[50:51], s[34:35]
	s_mov_b64 s[52:53], s[44:45]
	v_mov_b32_e32 v0, 0
	v_mov_b32_e32 v1, v27
.LBB7_188:                              ; =>This Inner Loop Header: Depth=1
	s_load_dwordx8 s[8:15], s[50:51], 0x4
	s_load_dwordx4 s[28:31], s[50:51], 0x24
	s_load_dwordx8 s[0:7], s[52:53], 0x0
	s_add_u32 s50, s50, 48
	s_addc_u32 s51, s51, 0
	s_waitcnt lgkmcnt(0)
	v_mul_hi_u32 v3, s9, v1
	s_add_i32 s59, s59, 4
	s_add_u32 s52, s52, 32
	s_addc_u32 s53, s53, 0
	v_add_u32_e32 v3, v1, v3
	v_lshrrev_b32_e32 v3, s10, v3
	v_mul_lo_u32 v4, v3, s8
	v_mul_hi_u32 v5, s12, v3
	s_cmp_eq_u32 s57, s59
	v_sub_u32_e32 v1, v1, v4
	v_add_u32_e32 v4, v3, v5
	v_mul_lo_u32 v5, v1, s0
	v_mul_lo_u32 v6, v1, s1
	v_lshrrev_b32_e32 v1, s13, v4
	v_mul_lo_u32 v4, v1, s11
	v_mul_hi_u32 v7, s15, v1
	v_sub_u32_e32 v3, v3, v4
	v_add_u32_e32 v4, v1, v7
	v_lshrrev_b32_e32 v4, s28, v4
	v_mul_hi_u32 v8, s30, v4
	v_mul_lo_u32 v9, v4, s14
	v_mul_lo_u32 v7, v3, s2
	;; [unrolled: 1-line block ×3, first 2 shown]
	v_sub_u32_e32 v9, v1, v9
	v_add_u32_e32 v1, v4, v8
	v_lshrrev_b32_e32 v1, s31, v1
	v_mul_lo_u32 v8, v1, s29
	v_mul_lo_u32 v10, v9, s4
	;; [unrolled: 1-line block ×3, first 2 shown]
	v_add3_u32 v0, v5, v0, v7
	v_sub_u32_e32 v4, v4, v8
	v_mul_lo_u32 v8, v4, s6
	v_mul_lo_u32 v4, v4, s7
	v_add3_u32 v2, v6, v2, v3
	v_add3_u32 v0, v10, v0, v8
	;; [unrolled: 1-line block ×3, first 2 shown]
	s_cbranch_scc0 .LBB7_188
	s_branch .LBB7_223
.LBB7_189:
                                        ; implicit-def: $vgpr0
                                        ; implicit-def: $vgpr2
	s_branch .LBB7_227
.LBB7_190:
	v_mov_b32_e32 v0, 0
	v_mov_b32_e32 v2, 0
	s_branch .LBB7_226
.LBB7_191:
	s_mov_b32 s57, 0
	v_mov_b32_e32 v0, 0
	v_mov_b32_e32 v2, 0
	;; [unrolled: 1-line block ×3, first 2 shown]
.LBB7_192:
	s_and_b32 s4, s58, 3
	s_cmp_eq_u32 s4, 0
	s_cbranch_scc1 .LBB7_195
; %bb.193:
	s_lshl_b32 s0, s57, 3
	s_add_u32 s0, s34, s0
	s_addc_u32 s1, s35, 0
	s_add_u32 s0, s0, 0xc4
	s_addc_u32 s1, s1, 0
	s_mul_i32 s2, s57, 12
	s_add_u32 s2, s34, s2
	s_addc_u32 s3, s35, 0
.LBB7_194:                              ; =>This Inner Loop Header: Depth=1
	s_load_dwordx2 s[6:7], s[2:3], 0x4
	s_load_dword s5, s[2:3], 0xc
	s_load_dwordx2 s[8:9], s[0:1], 0x0
	s_add_u32 s2, s2, 12
	s_addc_u32 s3, s3, 0
	s_waitcnt lgkmcnt(0)
	v_mul_hi_u32 v3, s7, v1
	s_add_u32 s0, s0, 8
	s_addc_u32 s1, s1, 0
	s_add_i32 s4, s4, -1
	v_add_u32_e32 v3, v1, v3
	v_lshrrev_b32_e32 v4, s5, v3
	v_mul_lo_u32 v3, v4, s6
	s_cmp_lg_u32 s4, 0
	v_sub_u32_e32 v3, v1, v3
	v_mad_u64_u32 v[0:1], s[6:7], v3, s8, v[0:1]
	v_mad_u64_u32 v[2:3], s[6:7], v3, s9, v[2:3]
	v_mov_b32_e32 v1, v4
	s_cbranch_scc1 .LBB7_194
.LBB7_195:
	s_cbranch_execnz .LBB7_198
.LBB7_196:
	s_waitcnt lgkmcnt(0)
	v_mul_hi_u32 v0, s25, v27
	s_andn2_b64 vcc, exec, s[42:43]
	v_add_u32_e32 v0, v27, v0
	v_lshrrev_b32_e32 v1, s26, v0
	v_mul_lo_u32 v0, v1, s24
	v_sub_u32_e32 v2, v27, v0
	v_mul_lo_u32 v0, v2, s20
	v_mul_lo_u32 v2, v2, s21
	s_cbranch_vccnz .LBB7_198
; %bb.197:
	v_mul_hi_u32 v3, s40, v1
	v_add_u32_e32 v3, v1, v3
	v_lshrrev_b32_e32 v3, s41, v3
	v_mul_lo_u32 v3, v3, s27
	v_sub_u32_e32 v3, v1, v3
	v_mad_u64_u32 v[0:1], s[0:1], v3, s22, v[0:1]
	v_mad_u64_u32 v[2:3], s[0:1], v3, s23, v[2:3]
.LBB7_198:
	s_waitcnt lgkmcnt(0)
	global_load_dwordx2 v[1:2], v2, s[18:19]
	s_mov_b32 s0, 0
	s_mov_b32 s1, 0x40140000
                                        ; implicit-def: $vgpr3_vgpr4
	s_waitcnt vmcnt(0)
	v_cmp_ge_f64_e32 vcc, s[0:1], v[1:2]
	s_and_saveexec_b64 s[0:1], vcc
	s_xor_b64 s[0:1], exec, s[0:1]
	s_cbranch_execz .LBB7_208
; %bb.199:
	v_cmp_neq_f64_e32 vcc, 0, v[1:2]
	v_mov_b32_e32 v3, 0
	v_mov_b32_e32 v4, 0xfff00000
	s_and_saveexec_b64 s[2:3], vcc
	s_cbranch_execz .LBB7_207
; %bb.200:
	v_cmp_ngt_f64_e32 vcc, 0, v[1:2]
	v_mov_b32_e32 v3, 0
	v_mov_b32_e32 v4, 0x7ff80000
	s_and_saveexec_b64 s[4:5], vcc
	s_cbranch_execz .LBB7_206
; %bb.201:
	v_mul_f64 v[3:4], v[1:2], v[1:2]
	s_mov_b32 s6, 0x88e368f1
	s_mov_b32 s7, 0x3ee4f8b5
	v_cmp_ngt_f64_e32 vcc, s[6:7], v[1:2]
                                        ; implicit-def: $vgpr5_vgpr6
	v_mul_f64 v[7:8], v[3:4], 0
	s_and_saveexec_b64 s[6:7], vcc
	s_xor_b64 s[6:7], exec, s[6:7]
	s_cbranch_execz .LBB7_203
; %bb.202:
	s_mov_b32 s8, 0xa696b78c
	s_mov_b32 s9, 0x407f3902
	v_add_f64 v[5:6], v[7:8], s[8:9]
	s_mov_b32 s8, 0x36a21a67
	s_mov_b32 s9, 0x410536cb
	;; [unrolled: 1-line block ×7, first 2 shown]
	v_fma_f64 v[5:6], v[3:4], v[5:6], s[8:9]
	s_mov_b32 s8, 0x2eac0634
	s_mov_b32 s9, 0x41871934
	;; [unrolled: 1-line block ×3, first 2 shown]
	v_fma_f64 v[5:6], v[3:4], v[5:6], s[8:9]
	s_mov_b32 s8, 0xad1c8325
	s_mov_b32 s9, 0xc1f1dc53
	v_add_f64 v[9:10], v[7:8], s[8:9]
	s_mov_b32 s8, 0xe0d900f7
	s_mov_b32 s9, 0xc2ec5614
	v_fma_f64 v[5:6], v[3:4], v[5:6], s[12:13]
	s_mov_b32 s12, 0x72182e46
	s_mov_b32 s13, 0x427ebeb3
	v_fma_f64 v[9:10], v[3:4], v[9:10], s[10:11]
	s_mov_b32 s10, 0x80462bbb
	s_mov_b32 s11, 0xc01721fb
	v_add_f64 v[11:12], v[3:4], s[10:11]
	s_mov_b32 s10, 0x69ff5fb4
	v_fma_f64 v[5:6], v[3:4], v[5:6], s[12:13]
	s_mov_b32 s12, 0xa621dd6f
	s_mov_b32 s13, 0xc03e78a4
	v_add_f64 v[13:14], v[3:4], s[12:13]
	v_fma_f64 v[9:10], v[3:4], v[9:10], s[8:9]
	s_mov_b32 s8, 0x7e7b2e9c
	s_mov_b32 s9, 0x435c4141
	;; [unrolled: 1-line block ×3, first 2 shown]
	v_fma_f64 v[5:6], v[3:4], v[5:6], s[14:15]
	v_mul_f64 v[11:12], v[11:12], v[13:14]
	v_fma_f64 v[9:10], v[3:4], v[9:10], s[10:11]
	v_fma_f64 v[5:6], v[3:4], v[5:6], s[8:9]
	s_mov_b32 s8, 0xc7b662cc
	s_mov_b32 s9, 0x43b7be34
	v_mul_f64 v[9:10], v[11:12], v[9:10]
	v_fma_f64 v[5:6], v[3:4], v[5:6], s[8:9]
	v_div_scale_f64 v[11:12], s[8:9], v[5:6], v[5:6], v[9:10]
	v_div_scale_f64 v[17:18], vcc, v[9:10], v[5:6], v[9:10]
	v_rcp_f64_e32 v[13:14], v[11:12]
	v_fma_f64 v[15:16], -v[11:12], v[13:14], 1.0
	v_fma_f64 v[13:14], v[13:14], v[15:16], v[13:14]
	v_fma_f64 v[15:16], -v[11:12], v[13:14], 1.0
	v_fma_f64 v[13:14], v[13:14], v[15:16], v[13:14]
	v_mul_f64 v[15:16], v[17:18], v[13:14]
	v_fma_f64 v[11:12], -v[11:12], v[15:16], v[17:18]
	v_div_fmas_f64 v[11:12], v[11:12], v[13:14], v[15:16]
	v_div_fixup_f64 v[5:6], v[11:12], v[5:6], v[9:10]
.LBB7_203:
	s_andn2_saveexec_b64 s[6:7], s[6:7]
	s_cbranch_execz .LBB7_205
; %bb.204:
	s_mov_b32 s8, 0
	s_mov_b32 s9, 0xbfd00000
	v_fma_f64 v[5:6], v[3:4], s[8:9], 1.0
.LBB7_205:
	s_or_b64 exec, exec, s[6:7]
	v_frexp_mant_f64_e32 v[9:10], v[1:2]
	s_mov_b32 s7, 0x3fe55555
	s_mov_b32 s6, 0x55555555
	;; [unrolled: 1-line block ×7, first 2 shown]
	v_cmp_gt_f64_e32 vcc, s[6:7], v[9:10]
	s_mov_b32 s31, 0x3fcc71c0
	s_mov_b32 s10, 0x32e48896
	;; [unrolled: 1-line block ×7, first 2 shown]
	v_cndmask_b32_e64 v11, 0, 1, vcc
	v_ldexp_f64 v[9:10], v[9:10], v11
	s_mov_b32 s29, 0x42d3ea72
	s_mov_b32 s50, 0x660b4003
	;; [unrolled: 1-line block ×3, first 2 shown]
	v_add_f64 v[11:12], v[9:10], 1.0
	v_add_f64 v[17:18], v[9:10], -1.0
	v_rcp_f64_e32 v[13:14], v[11:12]
	v_add_f64 v[19:20], v[11:12], -1.0
	v_add_f64 v[9:10], v[9:10], -v[19:20]
	v_fma_f64 v[15:16], -v[11:12], v[13:14], 1.0
	v_fma_f64 v[13:14], v[15:16], v[13:14], v[13:14]
	v_fma_f64 v[15:16], -v[11:12], v[13:14], 1.0
	v_fma_f64 v[13:14], v[15:16], v[13:14], v[13:14]
	v_mul_f64 v[15:16], v[17:18], v[13:14]
	v_mul_f64 v[21:22], v[11:12], v[15:16]
	v_fma_f64 v[11:12], v[15:16], v[11:12], -v[21:22]
	v_fma_f64 v[9:10], v[15:16], v[9:10], v[11:12]
	v_add_f64 v[11:12], v[21:22], v[9:10]
	v_add_f64 v[19:20], v[17:18], -v[11:12]
	v_add_f64 v[21:22], v[11:12], -v[21:22]
	;; [unrolled: 1-line block ×5, first 2 shown]
	v_mov_b32_e32 v17, 0x6b47b09a
	v_mov_b32_e32 v18, 0x3fc38538
	v_add_f64 v[9:10], v[9:10], v[11:12]
	v_add_f64 v[9:10], v[19:20], v[9:10]
	v_mul_f64 v[9:10], v[13:14], v[9:10]
	v_add_f64 v[11:12], v[15:16], v[9:10]
	v_mul_f64 v[13:14], v[11:12], v[11:12]
	v_fma_f64 v[17:18], v[13:14], s[8:9], v[17:18]
	s_mov_b32 s8, 0xe896898f
	s_mov_b32 s9, 0x40ce7437
	v_add_f64 v[19:20], v[7:8], s[8:9]
	s_mov_b32 s8, 0x9b27acf1
	s_mov_b32 s9, 0x3fd24924
	v_mul_f64 v[21:22], v[11:12], v[13:14]
	v_fma_f64 v[17:18], v[13:14], v[17:18], s[12:13]
	s_mov_b32 s12, 0xf0284cdd
	s_mov_b32 s13, 0x41f43f78
	v_fma_f64 v[19:20], v[3:4], v[19:20], s[10:11]
	s_mov_b32 s10, 0x5164d101
	s_mov_b32 s11, 0x41b00763
	;; [unrolled: 3-line block ×3, first 2 shown]
	v_fma_f64 v[19:20], v[3:4], v[19:20], s[12:13]
	v_fma_f64 v[17:18], v[13:14], v[17:18], s[8:9]
	s_mov_b32 s8, 0x576dfcb6
	s_mov_b32 s9, 0x40904522
	v_add_f64 v[7:8], v[7:8], s[8:9]
	s_mov_b32 s8, 0x998ef7b6
	s_mov_b32 s9, 0x3fd99999
	v_fma_f64 v[17:18], v[13:14], v[17:18], s[8:9]
	s_mov_b32 s8, 0xa907bc0c
	s_mov_b32 s9, 0x41231b76
	v_fma_f64 v[7:8], v[3:4], v[7:8], s[8:9]
	;; [unrolled: 3-line block ×3, first 2 shown]
	v_fma_f64 v[17:18], v[3:4], v[19:20], s[14:15]
	v_ldexp_f64 v[19:20], v[11:12], 1
	v_fma_f64 v[7:8], v[3:4], v[7:8], s[10:11]
	s_mov_b32 s6, 0x2b8664bc
	s_mov_b32 s7, 0x42341ddb
	v_add_f64 v[11:12], v[11:12], -v[15:16]
	s_mov_b32 s10, 0xdfeb596d
	v_mul_f64 v[13:14], v[21:22], v[13:14]
	v_frexp_exp_i32_f64_e32 v21, v[1:2]
	s_mov_b32 s11, 0x43268910
	v_fma_f64 v[1:2], v[3:4], v[7:8], s[6:7]
	v_fma_f64 v[7:8], v[3:4], v[17:18], s[28:29]
	s_mov_b32 s6, 0xfefa39ef
	s_mov_b32 s7, 0x3fe62e42
	v_add_f64 v[9:10], v[9:10], -v[11:12]
	v_add_f64 v[15:16], v[19:20], v[13:14]
	v_subbrev_co_u32_e32 v17, vcc, 0, v21, vcc
	v_cvt_f64_i32_e32 v[17:18], v17
	v_fma_f64 v[1:2], v[3:4], v[1:2], s[8:9]
	v_fma_f64 v[7:8], v[3:4], v[7:8], s[30:31]
	s_mov_b32 s8, 0xbcf9b5d0
	v_mul_f64 v[21:22], v[17:18], s[6:7]
	v_add_f64 v[11:12], v[15:16], -v[19:20]
	v_ldexp_f64 v[9:10], v[9:10], 1
	s_mov_b32 s9, 0x438bd25f
	v_fma_f64 v[1:2], v[3:4], v[1:2], s[10:11]
	v_fma_f64 v[7:8], v[3:4], v[7:8], s[50:51]
	v_fma_f64 v[19:20], v[17:18], s[6:7], -v[21:22]
	v_add_f64 v[11:12], v[13:14], -v[11:12]
	s_mov_b32 s6, 0x5906367b
	s_mov_b32 s7, 0xc3506d4b
	v_fma_f64 v[1:2], v[3:4], v[1:2], s[8:9]
	v_fma_f64 v[3:4], v[3:4], v[7:8], s[6:7]
	s_mov_b32 s6, 0x3b39803f
	s_mov_b32 s7, 0x3c7abc9e
	v_fma_f64 v[7:8], v[17:18], s[6:7], v[19:20]
	v_add_f64 v[9:10], v[9:10], v[11:12]
	v_div_scale_f64 v[11:12], s[6:7], v[1:2], v[1:2], v[3:4]
	s_mov_b32 s6, 0x6dc9c883
	v_add_f64 v[13:14], v[21:22], v[7:8]
	v_add_f64 v[17:18], v[15:16], v[9:10]
	s_mov_b32 s7, 0x3fe45f30
	v_add_f64 v[21:22], v[13:14], -v[21:22]
	v_add_f64 v[19:20], v[13:14], v[17:18]
	v_add_f64 v[15:16], v[17:18], -v[15:16]
	v_rcp_f64_e32 v[23:24], v[11:12]
	v_add_f64 v[7:8], v[7:8], -v[21:22]
	v_add_f64 v[25:26], v[19:20], -v[13:14]
	;; [unrolled: 1-line block ×5, first 2 shown]
	v_add_f64 v[21:22], v[7:8], v[9:10]
	v_fma_f64 v[30:31], -v[11:12], v[23:24], 1.0
	v_add_f64 v[13:14], v[13:14], -v[28:29]
	v_add_f64 v[25:26], v[21:22], -v[7:8]
	v_fma_f64 v[17:18], v[23:24], v[30:31], v[23:24]
	v_div_scale_f64 v[23:24], vcc, v[3:4], v[1:2], v[3:4]
	v_add_f64 v[13:14], v[15:16], v[13:14]
	v_add_f64 v[9:10], v[9:10], -v[25:26]
	v_fma_f64 v[15:16], -v[11:12], v[17:18], 1.0
	v_add_f64 v[13:14], v[21:22], v[13:14]
	v_fma_f64 v[15:16], v[17:18], v[15:16], v[17:18]
	v_add_f64 v[17:18], v[21:22], -v[25:26]
	v_add_f64 v[21:22], v[19:20], v[13:14]
	v_mul_f64 v[28:29], v[23:24], v[15:16]
	v_add_f64 v[7:8], v[7:8], -v[17:18]
	v_add_f64 v[17:18], v[21:22], -v[19:20]
	v_fma_f64 v[11:12], -v[11:12], v[28:29], v[23:24]
	v_add_f64 v[7:8], v[9:10], v[7:8]
	v_add_f64 v[9:10], v[13:14], -v[17:18]
	v_div_fmas_f64 v[11:12], v[11:12], v[15:16], v[28:29]
	v_add_f64 v[7:8], v[7:8], v[9:10]
	v_add_f64 v[7:8], v[21:22], v[7:8]
	v_div_fixup_f64 v[1:2], v[11:12], v[1:2], v[3:4]
	v_mul_f64 v[3:4], v[7:8], s[6:7]
	v_fma_f64 v[3:4], v[3:4], v[5:6], v[1:2]
.LBB7_206:
	s_or_b64 exec, exec, s[4:5]
.LBB7_207:
	s_or_b64 exec, exec, s[2:3]
                                        ; implicit-def: $vgpr1_vgpr2
.LBB7_208:
	s_andn2_saveexec_b64 s[6:7], s[0:1]
	s_cbranch_execz .LBB7_218
; %bb.209:
	s_mov_b32 s5, 0xbfe921fb
	s_mov_b32 s4, 0x54442d18
	v_add_f64 v[3:4], v[1:2], s[4:5]
	s_mov_b32 s0, 0
	s_mov_b32 s1, 0x41d00000
                                        ; implicit-def: $vgpr28
                                        ; implicit-def: $vgpr5_vgpr6
                                        ; implicit-def: $vgpr7_vgpr8
	v_cmp_nlt_f64_e64 s[2:3], |v[3:4]|, s[0:1]
	s_and_saveexec_b64 s[0:1], s[2:3]
	s_xor_b64 s[8:9], exec, s[0:1]
	s_cbranch_execz .LBB7_211
; %bb.210:
	v_trig_preop_f64 v[5:6], |v[3:4]|, 0
	s_mov_b32 s0, 0
	s_mov_b32 s1, 0x7b000000
	s_movk_i32 s5, 0xff80
	v_ldexp_f64 v[9:10], |v[3:4]|, s5
	v_cmp_ge_f64_e64 vcc, |v[3:4]|, s[0:1]
	v_trig_preop_f64 v[7:8], |v[3:4]|, 1
	v_and_b32_e32 v11, 0x7fffffff, v4
	v_trig_preop_f64 v[17:18], |v[3:4]|, 2
	s_mov_b32 s0, 0
	s_mov_b32 s1, 0x7ff00000
	v_mov_b32_e32 v28, 0x40100000
	v_mov_b32_e32 v29, 0
	v_cndmask_b32_e32 v10, v11, v10, vcc
	v_cndmask_b32_e32 v9, v3, v9, vcc
	s_mov_b32 s5, 0x3ff921fb
	v_mul_f64 v[11:12], v[5:6], v[9:10]
	v_mul_f64 v[13:14], v[7:8], v[9:10]
	;; [unrolled: 1-line block ×3, first 2 shown]
	v_fma_f64 v[5:6], v[5:6], v[9:10], -v[11:12]
	v_fma_f64 v[7:8], v[7:8], v[9:10], -v[13:14]
	;; [unrolled: 1-line block ×3, first 2 shown]
	v_add_f64 v[15:16], v[13:14], v[5:6]
	v_add_f64 v[19:20], v[15:16], -v[13:14]
	v_add_f64 v[25:26], v[11:12], v[15:16]
	v_add_f64 v[21:22], v[15:16], -v[19:20]
	v_add_f64 v[5:6], v[5:6], -v[19:20]
	v_add_f64 v[19:20], v[23:24], v[7:8]
	v_add_f64 v[11:12], v[25:26], -v[11:12]
	v_add_f64 v[13:14], v[13:14], -v[21:22]
	v_ldexp_f64 v[21:22], v[25:26], -2
	v_add_f64 v[31:32], v[19:20], -v[23:24]
	v_add_f64 v[11:12], v[15:16], -v[11:12]
	v_add_f64 v[5:6], v[5:6], v[13:14]
	v_fract_f64_e32 v[13:14], v[21:22]
	v_cmp_neq_f64_e64 vcc, |v[21:22]|, s[0:1]
	v_add_f64 v[7:8], v[7:8], -v[31:32]
	v_add_f64 v[15:16], v[19:20], v[5:6]
	v_ldexp_f64 v[13:14], v[13:14], 2
	v_add_f64 v[21:22], v[11:12], v[15:16]
	v_cndmask_b32_e32 v14, 0, v14, vcc
	v_cndmask_b32_e32 v13, 0, v13, vcc
	v_add_f64 v[33:34], v[15:16], -v[19:20]
	v_add_f64 v[25:26], v[21:22], v[13:14]
	v_add_f64 v[11:12], v[21:22], -v[11:12]
	v_add_f64 v[35:36], v[15:16], -v[33:34]
	;; [unrolled: 1-line block ×3, first 2 shown]
	v_cmp_gt_f64_e32 vcc, 0, v[25:26]
	v_add_f64 v[25:26], v[19:20], -v[31:32]
	v_add_f64 v[11:12], v[15:16], -v[11:12]
	;; [unrolled: 1-line block ×3, first 2 shown]
	v_cndmask_b32_e32 v30, 0, v28, vcc
	v_add_f64 v[13:14], v[13:14], v[29:30]
	v_add_f64 v[25:26], v[23:24], -v[25:26]
	v_add_f64 v[5:6], v[5:6], v[19:20]
	v_add_f64 v[37:38], v[21:22], v[13:14]
	;; [unrolled: 1-line block ×3, first 2 shown]
	v_cvt_i32_f64_e32 v28, v[37:38]
	v_add_f64 v[5:6], v[7:8], v[5:6]
	v_cvt_f64_i32_e32 v[30:31], v28
	v_add_f64 v[13:14], v[13:14], -v[30:31]
	v_add_f64 v[5:6], v[9:10], v[5:6]
	v_add_f64 v[7:8], v[21:22], v[13:14]
	;; [unrolled: 1-line block ×3, first 2 shown]
	v_mov_b32_e32 v11, 0x3ff00000
	v_add_f64 v[9:10], v[7:8], -v[13:14]
	v_cmp_le_f64_e32 vcc, 0.5, v[7:8]
	v_add_f64 v[9:10], v[21:22], -v[9:10]
	v_cndmask_b32_e32 v30, 0, v11, vcc
	v_add_f64 v[7:8], v[7:8], -v[29:30]
	v_addc_co_u32_e64 v28, s[0:1], 0, v28, vcc
	s_mov_b32 s0, 0x33145c07
	s_mov_b32 s1, 0x3c91a626
	v_add_f64 v[5:6], v[5:6], v[9:10]
	v_add_f64 v[9:10], v[7:8], v[5:6]
	v_mul_f64 v[11:12], v[9:10], s[4:5]
	v_add_f64 v[7:8], v[9:10], -v[7:8]
	v_fma_f64 v[13:14], v[9:10], s[4:5], -v[11:12]
	v_add_f64 v[5:6], v[5:6], -v[7:8]
	v_fma_f64 v[7:8], v[9:10], s[0:1], v[13:14]
	v_fma_f64 v[7:8], v[5:6], s[4:5], v[7:8]
	v_add_f64 v[5:6], v[11:12], v[7:8]
	v_add_f64 v[9:10], v[5:6], -v[11:12]
	v_add_f64 v[7:8], v[7:8], -v[9:10]
	s_andn2_saveexec_b64 s[0:1], s[8:9]
	s_cbranch_execz .LBB7_213
	s_branch .LBB7_212
.LBB7_211:
	s_andn2_saveexec_b64 s[0:1], s[8:9]
	s_cbranch_execz .LBB7_213
.LBB7_212:
	s_mov_b32 s4, 0x6dc9c883
	s_mov_b32 s5, 0x3fe45f30
	v_mul_f64 v[5:6], |v[3:4]|, s[4:5]
	s_mov_b32 s4, 0x54442d18
	s_mov_b32 s5, 0xbff921fb
	;; [unrolled: 1-line block ×4, first 2 shown]
	v_rndne_f64_e32 v[9:10], v[5:6]
	v_fma_f64 v[5:6], v[9:10], s[4:5], |v[3:4]|
	v_mul_f64 v[7:8], v[9:10], s[8:9]
	s_mov_b32 s4, 0x252049c0
	s_mov_b32 s5, 0xb97b839a
	v_cvt_i32_f64_e32 v28, v[9:10]
	v_fma_f64 v[15:16], v[9:10], s[8:9], v[5:6]
	v_add_f64 v[11:12], v[5:6], v[7:8]
	s_mov_b32 s9, 0x3c91a626
	v_add_f64 v[13:14], v[5:6], -v[11:12]
	v_add_f64 v[11:12], v[11:12], -v[15:16]
	v_add_f64 v[5:6], v[13:14], v[7:8]
	v_fma_f64 v[7:8], v[9:10], s[8:9], v[7:8]
	v_add_f64 v[5:6], v[11:12], v[5:6]
	v_add_f64 v[5:6], v[5:6], -v[7:8]
	v_fma_f64 v[7:8], v[9:10], s[4:5], v[5:6]
	v_add_f64 v[5:6], v[15:16], v[7:8]
	v_add_f64 v[11:12], v[5:6], -v[15:16]
	v_add_f64 v[7:8], v[7:8], -v[11:12]
.LBB7_213:
	s_or_b64 exec, exec, s[0:1]
                                        ; implicit-def: $vgpr29
                                        ; implicit-def: $vgpr9_vgpr10
                                        ; implicit-def: $vgpr11_vgpr12
	s_and_saveexec_b64 s[0:1], s[2:3]
	s_xor_b64 s[2:3], exec, s[0:1]
	s_cbranch_execz .LBB7_215
; %bb.214:
	v_trig_preop_f64 v[9:10], |v[3:4]|, 0
	s_mov_b32 s0, 0
	s_mov_b32 s1, 0x7b000000
	s_movk_i32 s4, 0xff80
	v_ldexp_f64 v[13:14], |v[3:4]|, s4
	v_cmp_ge_f64_e64 vcc, |v[3:4]|, s[0:1]
	v_trig_preop_f64 v[11:12], |v[3:4]|, 1
	v_and_b32_e32 v15, 0x7fffffff, v4
	v_trig_preop_f64 v[21:22], |v[3:4]|, 2
	s_mov_b32 s0, 0
	s_mov_b32 s1, 0x7ff00000
	v_mov_b32_e32 v34, 0x40100000
	v_mov_b32_e32 v33, 0
	v_cndmask_b32_e32 v14, v15, v14, vcc
	v_cndmask_b32_e32 v13, v3, v13, vcc
	s_mov_b32 s4, 0x33145c07
	v_mul_f64 v[15:16], v[9:10], v[13:14]
	s_mov_b32 s5, 0x3c91a626
	v_mul_f64 v[17:18], v[11:12], v[13:14]
	v_mul_f64 v[29:30], v[21:22], v[13:14]
	v_fma_f64 v[9:10], v[9:10], v[13:14], -v[15:16]
	v_fma_f64 v[11:12], v[11:12], v[13:14], -v[17:18]
	;; [unrolled: 1-line block ×3, first 2 shown]
	v_add_f64 v[19:20], v[17:18], v[9:10]
	v_add_f64 v[23:24], v[19:20], -v[17:18]
	v_add_f64 v[31:32], v[15:16], v[19:20]
	v_add_f64 v[25:26], v[19:20], -v[23:24]
	v_add_f64 v[9:10], v[9:10], -v[23:24]
	v_add_f64 v[23:24], v[29:30], v[11:12]
	v_add_f64 v[15:16], v[31:32], -v[15:16]
	v_add_f64 v[17:18], v[17:18], -v[25:26]
	v_ldexp_f64 v[25:26], v[31:32], -2
	v_add_f64 v[35:36], v[23:24], -v[29:30]
	v_add_f64 v[15:16], v[19:20], -v[15:16]
	v_add_f64 v[9:10], v[9:10], v[17:18]
	v_fract_f64_e32 v[17:18], v[25:26]
	v_cmp_neq_f64_e64 vcc, |v[25:26]|, s[0:1]
	v_add_f64 v[11:12], v[11:12], -v[35:36]
	v_add_f64 v[19:20], v[23:24], v[9:10]
	v_ldexp_f64 v[17:18], v[17:18], 2
	v_add_f64 v[25:26], v[15:16], v[19:20]
	v_cndmask_b32_e32 v18, 0, v18, vcc
	v_cndmask_b32_e32 v17, 0, v17, vcc
	v_add_f64 v[37:38], v[19:20], -v[23:24]
	v_add_f64 v[31:32], v[25:26], v[17:18]
	v_add_f64 v[15:16], v[25:26], -v[15:16]
	v_add_f64 v[39:40], v[19:20], -v[37:38]
	;; [unrolled: 1-line block ×3, first 2 shown]
	v_cmp_gt_f64_e32 vcc, 0, v[31:32]
	v_add_f64 v[31:32], v[23:24], -v[35:36]
	v_add_f64 v[15:16], v[19:20], -v[15:16]
	;; [unrolled: 1-line block ×3, first 2 shown]
	v_cndmask_b32_e32 v34, 0, v34, vcc
	v_add_f64 v[17:18], v[17:18], v[33:34]
	v_add_f64 v[31:32], v[29:30], -v[31:32]
	v_add_f64 v[9:10], v[9:10], v[23:24]
	v_add_f64 v[41:42], v[25:26], v[17:18]
	;; [unrolled: 1-line block ×3, first 2 shown]
	v_cvt_i32_f64_e32 v36, v[41:42]
	v_add_f64 v[9:10], v[11:12], v[9:10]
	v_cvt_f64_i32_e32 v[34:35], v36
	v_add_f64 v[17:18], v[17:18], -v[34:35]
	v_add_f64 v[9:10], v[13:14], v[9:10]
	v_add_f64 v[11:12], v[25:26], v[17:18]
	;; [unrolled: 1-line block ×3, first 2 shown]
	v_mov_b32_e32 v15, 0x3ff00000
	v_add_f64 v[13:14], v[11:12], -v[17:18]
	v_cmp_le_f64_e32 vcc, 0.5, v[11:12]
	v_add_f64 v[13:14], v[25:26], -v[13:14]
	v_cndmask_b32_e32 v34, 0, v15, vcc
	v_add_f64 v[11:12], v[11:12], -v[33:34]
	v_addc_co_u32_e64 v29, s[0:1], 0, v36, vcc
	s_mov_b32 s0, 0x54442d18
	s_mov_b32 s1, 0x3ff921fb
	v_add_f64 v[9:10], v[9:10], v[13:14]
	v_add_f64 v[13:14], v[11:12], v[9:10]
	v_mul_f64 v[15:16], v[13:14], s[0:1]
	v_add_f64 v[11:12], v[13:14], -v[11:12]
	v_fma_f64 v[17:18], v[13:14], s[0:1], -v[15:16]
	v_add_f64 v[9:10], v[9:10], -v[11:12]
	v_fma_f64 v[11:12], v[13:14], s[4:5], v[17:18]
	v_fma_f64 v[11:12], v[9:10], s[0:1], v[11:12]
	v_add_f64 v[9:10], v[15:16], v[11:12]
	v_add_f64 v[13:14], v[9:10], -v[15:16]
	v_add_f64 v[11:12], v[11:12], -v[13:14]
	s_andn2_saveexec_b64 s[0:1], s[2:3]
	s_cbranch_execnz .LBB7_216
	s_branch .LBB7_217
.LBB7_215:
	s_andn2_saveexec_b64 s[0:1], s[2:3]
	s_cbranch_execz .LBB7_217
.LBB7_216:
	s_mov_b32 s2, 0x6dc9c883
	s_mov_b32 s3, 0x3fe45f30
	v_mul_f64 v[9:10], |v[3:4]|, s[2:3]
	s_mov_b32 s2, 0x54442d18
	s_mov_b32 s3, 0xbff921fb
	;; [unrolled: 1-line block ×4, first 2 shown]
	v_rndne_f64_e32 v[13:14], v[9:10]
	v_fma_f64 v[9:10], v[13:14], s[2:3], |v[3:4]|
	v_mul_f64 v[11:12], v[13:14], s[4:5]
	s_mov_b32 s2, 0x252049c0
	s_mov_b32 s3, 0xb97b839a
	v_cvt_i32_f64_e32 v29, v[13:14]
	v_fma_f64 v[19:20], v[13:14], s[4:5], v[9:10]
	v_add_f64 v[15:16], v[9:10], v[11:12]
	s_mov_b32 s5, 0x3c91a626
	v_add_f64 v[17:18], v[9:10], -v[15:16]
	v_add_f64 v[15:16], v[15:16], -v[19:20]
	v_add_f64 v[9:10], v[17:18], v[11:12]
	v_fma_f64 v[11:12], v[13:14], s[4:5], v[11:12]
	v_add_f64 v[9:10], v[15:16], v[9:10]
	v_add_f64 v[9:10], v[9:10], -v[11:12]
	v_fma_f64 v[11:12], v[13:14], s[2:3], v[9:10]
	v_add_f64 v[9:10], v[19:20], v[11:12]
	v_add_f64 v[15:16], v[9:10], -v[19:20]
	v_add_f64 v[11:12], v[11:12], -v[15:16]
.LBB7_217:
	s_or_b64 exec, exec, s[0:1]
	v_mul_f64 v[13:14], v[1:2], v[1:2]
	s_mov_b32 s10, 0
	s_mov_b32 s11, 0x40390000
	;; [unrolled: 1-line block ×7, first 2 shown]
	v_div_scale_f64 v[15:16], s[0:1], v[13:14], v[13:14], s[10:11]
	s_mov_b32 s28, 0xc9b3069f
	s_mov_b32 s9, 0x3ff3d521
	;; [unrolled: 1-line block ×14, first 2 shown]
	v_rcp_f64_e32 v[17:18], v[15:16]
	s_brev_b32 s61, 8
	s_mov_b32 s58, 0xb42fdfa7
	s_mov_b32 s59, 0xbe5ae600
	v_mov_b32_e32 v54, s58
	v_mov_b32_e32 v55, s59
	;; [unrolled: 1-line block ×3, first 2 shown]
	s_mov_b32 s52, 0x19e83e5c
	s_mov_b32 s53, 0xbf2a01a0
	v_and_b32_e32 v62, 1, v28
	v_fma_f64 v[19:20], -v[15:16], v[17:18], 1.0
	v_fma_f64 v[17:18], v[17:18], v[19:20], v[17:18]
	v_div_scale_f64 v[19:20], vcc, s[10:11], v[13:14], s[10:11]
	v_fma_f64 v[21:22], -v[15:16], v[17:18], 1.0
	v_fma_f64 v[17:18], v[17:18], v[21:22], v[17:18]
	v_mul_f64 v[21:22], v[19:20], v[17:18]
	v_fma_f64 v[15:16], -v[15:16], v[21:22], v[19:20]
	v_div_fmas_f64 v[15:16], v[15:16], v[17:18], v[21:22]
	v_mov_b32_e32 v17, 0x983b6b27
	v_mov_b32_e32 v18, 0x3f4a1d30
	;; [unrolled: 1-line block ×4, first 2 shown]
	v_div_fixup_f64 v[19:20], v[15:16], v[13:14], s[10:11]
	s_mov_b32 s10, 0xea1b21a1
	s_mov_b32 s11, 0x40218618
	v_fma_f64 v[13:14], v[19:20], 0, v[21:22]
	v_fma_f64 v[15:16], v[19:20], 0, v[17:18]
	v_mov_b32_e32 v17, 0x38a5384a
	v_mov_b32_e32 v18, 0xbf874742
	v_fma_f64 v[17:18], v[19:20], 0, v[17:18]
	v_mov_b32_e32 v21, 0x413c25ac
	v_mov_b32_e32 v22, 0x40501457
	v_fma_f64 v[21:22], v[19:20], 0, v[21:22]
	v_fma_f64 v[13:14], v[19:20], v[13:14], s[14:15]
	v_fma_f64 v[15:16], v[19:20], v[15:16], s[12:13]
	s_mov_b32 s12, 0x3a321174
	s_mov_b32 s13, 0xbff4853b
	v_fma_f64 v[17:18], v[19:20], v[17:18], s[12:13]
	s_mov_b32 s12, 0xb1759c7f
	s_mov_b32 s13, 0x408ac370
	v_fma_f64 v[21:22], v[19:20], v[21:22], s[12:13]
	v_fma_f64 v[13:14], v[19:20], v[13:14], s[28:29]
	v_fma_f64 v[15:16], v[19:20], v[15:16], s[8:9]
	s_mov_b32 s8, 0xf50e2c0c
	s_mov_b32 s9, 0xc0338dcf
	v_fma_f64 v[17:18], v[19:20], v[17:18], s[8:9]
	s_mov_b32 s8, 0xbd748cb5
	s_mov_b32 s9, 0x40ae54cd
	;; [unrolled: 8-line block ×5, first 2 shown]
	s_mov_b32 s1, 0xc049b48c
	v_fma_f64 v[13:14], v[19:20], v[13:14], 1.0
	v_fma_f64 v[15:16], v[19:20], v[15:16], 1.0
	s_mov_b32 s3, 0x40a01c2f
	v_fma_f64 v[23:24], v[19:20], v[21:22], s[2:3]
	v_fma_f64 v[25:26], v[19:20], v[17:18], s[0:1]
	s_mov_b32 s2, 0x6280a54
	s_mov_b32 s8, 0
	;; [unrolled: 1-line block ×4, first 2 shown]
	v_div_scale_f64 v[21:22], s[0:1], v[13:14], v[13:14], v[15:16]
	s_mov_b32 s0, 0xd1b9a1dd
	s_mov_b32 s1, 0xc0183358
	v_fma_f64 v[17:18], v[19:20], v[23:24], s[2:3]
	v_fma_f64 v[19:20], v[19:20], v[25:26], s[0:1]
	v_div_scale_f64 v[25:26], s[0:1], v[1:2], v[1:2], s[8:9]
	v_div_scale_f64 v[40:41], vcc, v[15:16], v[13:14], v[15:16]
	v_mul_f64 v[23:24], v[5:6], v[5:6]
	s_mov_b32 s30, 0xf9a43bb8
	s_mov_b32 s31, 0x3de5e0b2
	v_div_scale_f64 v[30:31], s[0:1], v[17:18], v[17:18], v[19:20]
	v_div_scale_f64 v[48:49], s[4:5], v[19:20], v[17:18], v[19:20]
	v_rcp_f64_e32 v[32:33], v[21:22]
	s_mov_b32 s0, 0x9037ab78
	s_mov_b32 s1, 0x3e21eeb6
	v_fma_f64 v[58:59], v[23:24], s[30:31], v[54:55]
	s_mov_b32 s28, 0x46cc5e42
	v_rcp_f64_e32 v[34:35], v[25:26]
	s_mov_b32 s50, 0x796cde01
	s_mov_b32 s29, 0xbda907db
	;; [unrolled: 1-line block ×6, first 2 shown]
	v_rcp_f64_e32 v[36:37], v[30:31]
	s_mov_b32 s15, 0x3f811111
	s_mov_b32 s10, 0x19f4ec90
	;; [unrolled: 1-line block ×3, first 2 shown]
	v_fma_f64 v[38:39], -v[21:22], v[32:33], 1.0
	v_fma_f64 v[32:33], v[32:33], v[38:39], v[32:33]
	v_fma_f64 v[38:39], -v[25:26], v[34:35], 1.0
	v_fma_f64 v[42:43], -v[30:31], v[36:37], 1.0
	;; [unrolled: 1-line block ×3, first 2 shown]
	v_fma_f64 v[34:35], v[34:35], v[38:39], v[34:35]
	v_mul_f64 v[38:39], v[7:8], 0.5
	v_fma_f64 v[36:37], v[36:37], v[42:43], v[36:37]
	v_mul_f64 v[42:43], v[9:10], v[9:10]
	v_fma_f64 v[32:33], v[32:33], v[44:45], v[32:33]
	v_div_scale_f64 v[44:45], s[2:3], s[8:9], v[1:2], s[8:9]
	v_fma_f64 v[46:47], -v[25:26], v[34:35], 1.0
	v_fma_f64 v[50:51], -v[30:31], v[36:37], 1.0
	v_fma_f64 v[54:55], v[42:43], s[30:31], v[54:55]
	v_mul_f64 v[52:53], v[40:41], v[32:33]
	v_fma_f64 v[34:35], v[34:35], v[46:47], v[34:35]
	v_mov_b32_e32 v47, s1
	v_mov_b32_e32 v46, s0
	v_fma_f64 v[36:37], v[36:37], v[50:51], v[36:37]
	v_cmp_gt_f64_e64 s[0:1], s[60:61], v[1:2]
	v_fma_f64 v[21:22], -v[21:22], v[52:53], v[40:41]
	v_mul_f64 v[50:51], v[44:45], v[34:35]
	v_mul_f64 v[60:61], v[48:49], v[36:37]
	v_cndmask_b32_e64 v40, 0, v56, s[0:1]
	v_mul_f64 v[56:57], v[23:24], 0.5
	v_div_fmas_f64 v[21:22], v[21:22], v[32:33], v[52:53]
	v_mul_f64 v[32:33], v[42:43], 0.5
	v_fma_f64 v[25:26], -v[25:26], v[50:51], v[44:45]
	v_ldexp_f64 v[40:41], v[1:2], v40
	v_fma_f64 v[52:53], v[23:24], s[28:29], v[46:47]
	v_fma_f64 v[44:45], v[42:43], s[28:29], v[46:47]
	;; [unrolled: 1-line block ×3, first 2 shown]
	s_mov_b64 vcc, s[2:3]
	v_add_f64 v[58:59], -v[56:57], 1.0
	v_fma_f64 v[30:31], -v[30:31], v[60:61], v[48:49]
	v_add_f64 v[48:49], -v[32:33], 1.0
	v_div_fmas_f64 v[25:26], v[25:26], v[34:35], v[50:51]
	v_fma_f64 v[50:51], v[42:43], v[54:55], s[50:51]
	v_rsq_f64_e32 v[34:35], v[40:41]
	v_fma_f64 v[46:47], v[23:24], v[46:47], s[52:53]
	s_mov_b64 vcc, s[4:5]
	v_add_f64 v[54:55], -v[58:59], 1.0
	v_div_fmas_f64 v[30:31], v[30:31], v[36:37], v[60:61]
	v_add_f64 v[36:37], -v[48:49], 1.0
	v_fma_f64 v[52:53], v[23:24], v[52:53], s[12:13]
	v_fma_f64 v[50:51], v[42:43], v[50:51], s[52:53]
	;; [unrolled: 1-line block ×3, first 2 shown]
	v_mul_f64 v[60:61], v[5:6], -v[23:24]
	v_fma_f64 v[46:47], v[23:24], v[46:47], s[14:15]
	v_add_f64 v[54:55], v[54:55], -v[56:57]
	v_mul_f64 v[56:57], v[11:12], 0.5
	v_add_f64 v[32:33], v[36:37], -v[32:33]
	v_mul_f64 v[36:37], v[9:10], -v[42:43]
	v_fma_f64 v[50:51], v[42:43], v[50:51], s[14:15]
	v_fma_f64 v[52:53], v[23:24], v[52:53], s[10:11]
	;; [unrolled: 1-line block ×4, first 2 shown]
	v_mul_f64 v[46:47], v[40:41], v[34:35]
	v_mul_f64 v[34:35], v[34:35], 0.5
	s_mov_b32 s2, 0x16c16967
	s_mov_b32 s3, 0xbf56c16c
	v_fma_f64 v[50:51], v[36:37], v[50:51], v[56:57]
	v_fma_f64 v[52:53], v[23:24], v[52:53], s[2:3]
	;; [unrolled: 1-line block ×3, first 2 shown]
	v_fma_f64 v[54:55], v[5:6], -v[7:8], v[54:55]
	v_fma_f64 v[7:8], v[23:24], v[38:39], -v[7:8]
	v_fma_f64 v[56:57], -v[34:35], v[46:47], 0.5
	s_mov_b32 s4, 0x55555555
	s_mov_b32 s5, 0x3fa55555
	v_fma_f64 v[50:51], v[42:43], v[50:51], -v[11:12]
	v_fma_f64 v[38:39], v[23:24], v[52:53], s[4:5]
	v_mul_f64 v[23:24], v[23:24], v[23:24]
	v_fma_f64 v[44:45], v[42:43], v[44:45], s[4:5]
	v_mul_f64 v[42:43], v[42:43], v[42:43]
	v_fma_f64 v[11:12], v[9:10], -v[11:12], v[32:33]
	s_mov_b32 s11, 0xbfc55555
	v_fma_f64 v[46:47], v[46:47], v[56:57], v[46:47]
	s_mov_b32 s10, s4
	v_fma_f64 v[7:8], v[60:61], s[10:11], v[7:8]
	v_fma_f64 v[36:37], v[36:37], s[10:11], v[50:51]
	;; [unrolled: 1-line block ×5, first 2 shown]
	v_div_fixup_f64 v[1:2], v[25:26], v[1:2], s[8:9]
	v_fma_f64 v[34:35], -v[46:47], v[46:47], v[40:41]
	s_movk_i32 s2, 0x1f8
	v_add_f64 v[5:6], v[5:6], -v[7:8]
	v_add_f64 v[7:8], v[9:10], -v[36:37]
	v_div_fixup_f64 v[9:10], v[30:31], v[17:18], v[19:20]
	v_add_f64 v[23:24], v[58:59], v[23:24]
	v_add_f64 v[11:12], v[48:49], v[11:12]
	v_cmp_class_f64_e64 s[2:3], v[3:4], s2
	v_fma_f64 v[34:35], v[34:35], v[32:33], v[46:47]
	v_and_b32_e32 v39, 1, v29
	v_cmp_eq_u32_e32 vcc, 0, v62
	v_lshlrev_b32_e32 v29, 30, v29
	v_mul_f64 v[1:2], v[1:2], v[9:10]
	v_cndmask_b32_e32 v5, v23, v5, vcc
	v_xor_b32_e32 v8, 0x80000000, v8
	v_cmp_eq_u32_e64 s[4:5], 0, v39
	v_and_b32_e32 v19, 0x80000000, v29
	v_cndmask_b32_e64 v3, 0, v5, s[2:3]
	v_cndmask_b32_e64 v5, v8, v12, s[4:5]
	v_mov_b32_e32 v38, 0x7ff80000
	v_cndmask_b32_e64 v7, v7, v11, s[4:5]
	v_xor_b32_e32 v5, v5, v19
	v_fma_f64 v[17:18], -v[34:35], v[34:35], v[40:41]
	v_cndmask_b32_e64 v7, 0, v7, s[2:3]
	v_cndmask_b32_e64 v8, v38, v5, s[2:3]
	v_div_fixup_f64 v[9:10], v[21:22], v[13:14], v[15:16]
	v_mul_f64 v[1:2], v[1:2], v[7:8]
	v_lshlrev_b32_e32 v5, 30, v28
	v_xor_b32_e32 v4, v5, v4
	v_and_b32_e32 v4, 0x80000000, v4
	v_cndmask_b32_e32 v7, v24, v6, vcc
	v_xor_b32_e32 v4, v7, v4
	v_fma_f64 v[5:6], v[17:18], v[32:33], v[34:35]
	v_cndmask_b32_e64 v4, v38, v4, s[2:3]
	v_fma_f64 v[1:2], v[9:10], v[3:4], v[1:2]
	v_mov_b32_e32 v3, 0xffffff80
	s_mov_b32 s2, 0x33d43651
	v_mov_b32_e32 v7, 0x260
	v_cndmask_b32_e64 v3, 0, v3, s[0:1]
	s_mov_b32 s3, 0x3fe98845
	v_ldexp_f64 v[3:4], v[5:6], v3
	v_cmp_class_f64_e32 vcc, v[40:41], v7
	v_mul_f64 v[1:2], v[1:2], s[2:3]
	v_cndmask_b32_e32 v4, v4, v41, vcc
	v_cndmask_b32_e32 v3, v3, v40, vcc
	v_div_scale_f64 v[5:6], s[0:1], v[3:4], v[3:4], v[1:2]
	v_div_scale_f64 v[11:12], vcc, v[1:2], v[3:4], v[1:2]
	v_rcp_f64_e32 v[7:8], v[5:6]
	v_fma_f64 v[9:10], -v[5:6], v[7:8], 1.0
	v_fma_f64 v[7:8], v[7:8], v[9:10], v[7:8]
	v_fma_f64 v[9:10], -v[5:6], v[7:8], 1.0
	v_fma_f64 v[7:8], v[7:8], v[9:10], v[7:8]
	v_mul_f64 v[9:10], v[11:12], v[7:8]
	v_fma_f64 v[5:6], -v[5:6], v[9:10], v[11:12]
	v_div_fmas_f64 v[5:6], v[5:6], v[7:8], v[9:10]
	v_div_fixup_f64 v[3:4], v[5:6], v[3:4], v[1:2]
.LBB7_218:
	s_or_b64 exec, exec, s[6:7]
	v_add_u32_e32 v27, 0x80, v27
	global_store_dwordx2 v0, v[3:4], s[16:17]
	s_or_b64 exec, exec, s[48:49]
	v_cmp_gt_i32_e32 vcc, s55, v27
	s_and_saveexec_b64 s[48:49], vcc
	s_cbranch_execnz .LBB7_184
.LBB7_219:
	s_or_b64 exec, exec, s[48:49]
	v_cmp_gt_i32_e32 vcc, s55, v27
	s_and_saveexec_b64 s[48:49], vcc
	s_cbranch_execnz .LBB7_250
.LBB7_220:
	s_or_b64 exec, exec, s[48:49]
                                        ; implicit-def: $vgpr12
                                        ; implicit-def: $vgpr27
	s_andn2_saveexec_b64 s[0:1], s[38:39]
	s_cbranch_execnz .LBB7_8
.LBB7_221:
	s_endpgm
.LBB7_222:
	s_mov_b32 s57, 0
	v_mov_b32_e32 v0, 0
	v_mov_b32_e32 v2, 0
	;; [unrolled: 1-line block ×3, first 2 shown]
.LBB7_223:
	s_and_b32 s4, s58, 3
	s_cmp_eq_u32 s4, 0
	s_cbranch_scc1 .LBB7_226
; %bb.224:
	s_lshl_b32 s0, s57, 3
	s_add_u32 s0, s34, s0
	s_addc_u32 s1, s35, 0
	s_add_u32 s0, s0, 0xc4
	s_addc_u32 s1, s1, 0
	s_mul_i32 s2, s57, 12
	s_add_u32 s2, s34, s2
	s_addc_u32 s3, s35, 0
.LBB7_225:                              ; =>This Inner Loop Header: Depth=1
	s_load_dwordx2 s[6:7], s[2:3], 0x4
	s_load_dword s5, s[2:3], 0xc
	s_load_dwordx2 s[8:9], s[0:1], 0x0
	s_add_u32 s2, s2, 12
	s_addc_u32 s3, s3, 0
	s_waitcnt lgkmcnt(0)
	v_mul_hi_u32 v3, s7, v1
	s_add_u32 s0, s0, 8
	s_addc_u32 s1, s1, 0
	s_add_i32 s4, s4, -1
	v_add_u32_e32 v3, v1, v3
	v_lshrrev_b32_e32 v4, s5, v3
	v_mul_lo_u32 v3, v4, s6
	s_cmp_lg_u32 s4, 0
	v_sub_u32_e32 v3, v1, v3
	v_mad_u64_u32 v[0:1], s[6:7], v3, s8, v[0:1]
	v_mad_u64_u32 v[2:3], s[6:7], v3, s9, v[2:3]
	v_mov_b32_e32 v1, v4
	s_cbranch_scc1 .LBB7_225
.LBB7_226:
	s_cbranch_execnz .LBB7_229
.LBB7_227:
	s_waitcnt lgkmcnt(0)
	v_mul_hi_u32 v0, s25, v27
	s_andn2_b64 vcc, exec, s[42:43]
	v_add_u32_e32 v0, v27, v0
	v_lshrrev_b32_e32 v1, s26, v0
	v_mul_lo_u32 v0, v1, s24
	v_sub_u32_e32 v2, v27, v0
	v_mul_lo_u32 v0, v2, s20
	v_mul_lo_u32 v2, v2, s21
	s_cbranch_vccnz .LBB7_229
; %bb.228:
	v_mul_hi_u32 v3, s40, v1
	v_add_u32_e32 v3, v1, v3
	v_lshrrev_b32_e32 v3, s41, v3
	v_mul_lo_u32 v3, v3, s27
	v_sub_u32_e32 v3, v1, v3
	v_mad_u64_u32 v[0:1], s[0:1], v3, s22, v[0:1]
	v_mad_u64_u32 v[2:3], s[0:1], v3, s23, v[2:3]
.LBB7_229:
	s_waitcnt lgkmcnt(0)
	global_load_dwordx2 v[1:2], v2, s[18:19]
	s_mov_b32 s0, 0
	s_mov_b32 s1, 0x40140000
                                        ; implicit-def: $vgpr3_vgpr4
	s_waitcnt vmcnt(0)
	v_cmp_ge_f64_e32 vcc, s[0:1], v[1:2]
	s_and_saveexec_b64 s[0:1], vcc
	s_xor_b64 s[0:1], exec, s[0:1]
	s_cbranch_execz .LBB7_239
; %bb.230:
	v_cmp_neq_f64_e32 vcc, 0, v[1:2]
	v_mov_b32_e32 v3, 0
	v_mov_b32_e32 v4, 0xfff00000
	s_and_saveexec_b64 s[2:3], vcc
	s_cbranch_execz .LBB7_238
; %bb.231:
	v_cmp_ngt_f64_e32 vcc, 0, v[1:2]
	v_mov_b32_e32 v3, 0
	v_mov_b32_e32 v4, 0x7ff80000
	s_and_saveexec_b64 s[4:5], vcc
	s_cbranch_execz .LBB7_237
; %bb.232:
	v_mul_f64 v[3:4], v[1:2], v[1:2]
	s_mov_b32 s6, 0x88e368f1
	s_mov_b32 s7, 0x3ee4f8b5
	v_cmp_ngt_f64_e32 vcc, s[6:7], v[1:2]
                                        ; implicit-def: $vgpr5_vgpr6
	v_mul_f64 v[7:8], v[3:4], 0
	s_and_saveexec_b64 s[6:7], vcc
	s_xor_b64 s[6:7], exec, s[6:7]
	s_cbranch_execz .LBB7_234
; %bb.233:
	s_mov_b32 s8, 0xa696b78c
	s_mov_b32 s9, 0x407f3902
	v_add_f64 v[5:6], v[7:8], s[8:9]
	s_mov_b32 s8, 0x36a21a67
	s_mov_b32 s9, 0x410536cb
	;; [unrolled: 1-line block ×7, first 2 shown]
	v_fma_f64 v[5:6], v[3:4], v[5:6], s[8:9]
	s_mov_b32 s8, 0x2eac0634
	s_mov_b32 s9, 0x41871934
	s_mov_b32 s15, 0x42f1a6a2
	v_fma_f64 v[5:6], v[3:4], v[5:6], s[8:9]
	s_mov_b32 s8, 0xad1c8325
	s_mov_b32 s9, 0xc1f1dc53
	v_add_f64 v[9:10], v[7:8], s[8:9]
	s_mov_b32 s8, 0xe0d900f7
	s_mov_b32 s9, 0xc2ec5614
	v_fma_f64 v[5:6], v[3:4], v[5:6], s[12:13]
	s_mov_b32 s12, 0x72182e46
	s_mov_b32 s13, 0x427ebeb3
	v_fma_f64 v[9:10], v[3:4], v[9:10], s[10:11]
	s_mov_b32 s10, 0x80462bbb
	s_mov_b32 s11, 0xc01721fb
	v_add_f64 v[11:12], v[3:4], s[10:11]
	s_mov_b32 s10, 0x69ff5fb4
	v_fma_f64 v[5:6], v[3:4], v[5:6], s[12:13]
	s_mov_b32 s12, 0xa621dd6f
	s_mov_b32 s13, 0xc03e78a4
	v_add_f64 v[13:14], v[3:4], s[12:13]
	v_fma_f64 v[9:10], v[3:4], v[9:10], s[8:9]
	s_mov_b32 s8, 0x7e7b2e9c
	s_mov_b32 s9, 0x435c4141
	;; [unrolled: 1-line block ×3, first 2 shown]
	v_fma_f64 v[5:6], v[3:4], v[5:6], s[14:15]
	v_mul_f64 v[11:12], v[11:12], v[13:14]
	v_fma_f64 v[9:10], v[3:4], v[9:10], s[10:11]
	v_fma_f64 v[5:6], v[3:4], v[5:6], s[8:9]
	s_mov_b32 s8, 0xc7b662cc
	s_mov_b32 s9, 0x43b7be34
	v_mul_f64 v[9:10], v[11:12], v[9:10]
	v_fma_f64 v[5:6], v[3:4], v[5:6], s[8:9]
	v_div_scale_f64 v[11:12], s[8:9], v[5:6], v[5:6], v[9:10]
	v_div_scale_f64 v[17:18], vcc, v[9:10], v[5:6], v[9:10]
	v_rcp_f64_e32 v[13:14], v[11:12]
	v_fma_f64 v[15:16], -v[11:12], v[13:14], 1.0
	v_fma_f64 v[13:14], v[13:14], v[15:16], v[13:14]
	v_fma_f64 v[15:16], -v[11:12], v[13:14], 1.0
	v_fma_f64 v[13:14], v[13:14], v[15:16], v[13:14]
	v_mul_f64 v[15:16], v[17:18], v[13:14]
	v_fma_f64 v[11:12], -v[11:12], v[15:16], v[17:18]
	v_div_fmas_f64 v[11:12], v[11:12], v[13:14], v[15:16]
	v_div_fixup_f64 v[5:6], v[11:12], v[5:6], v[9:10]
.LBB7_234:
	s_andn2_saveexec_b64 s[6:7], s[6:7]
	s_cbranch_execz .LBB7_236
; %bb.235:
	s_mov_b32 s8, 0
	s_mov_b32 s9, 0xbfd00000
	v_fma_f64 v[5:6], v[3:4], s[8:9], 1.0
.LBB7_236:
	s_or_b64 exec, exec, s[6:7]
	v_frexp_mant_f64_e32 v[9:10], v[1:2]
	s_mov_b32 s7, 0x3fe55555
	s_mov_b32 s6, 0x55555555
	;; [unrolled: 1-line block ×7, first 2 shown]
	v_cmp_gt_f64_e32 vcc, s[6:7], v[9:10]
	s_mov_b32 s31, 0x3fcc71c0
	s_mov_b32 s10, 0x32e48896
	;; [unrolled: 1-line block ×7, first 2 shown]
	v_cndmask_b32_e64 v11, 0, 1, vcc
	v_ldexp_f64 v[9:10], v[9:10], v11
	s_mov_b32 s29, 0x42d3ea72
	s_mov_b32 s50, 0x660b4003
	;; [unrolled: 1-line block ×3, first 2 shown]
	v_add_f64 v[11:12], v[9:10], 1.0
	v_add_f64 v[17:18], v[9:10], -1.0
	v_rcp_f64_e32 v[13:14], v[11:12]
	v_add_f64 v[19:20], v[11:12], -1.0
	v_add_f64 v[9:10], v[9:10], -v[19:20]
	v_fma_f64 v[15:16], -v[11:12], v[13:14], 1.0
	v_fma_f64 v[13:14], v[15:16], v[13:14], v[13:14]
	v_fma_f64 v[15:16], -v[11:12], v[13:14], 1.0
	v_fma_f64 v[13:14], v[15:16], v[13:14], v[13:14]
	v_mul_f64 v[15:16], v[17:18], v[13:14]
	v_mul_f64 v[21:22], v[11:12], v[15:16]
	v_fma_f64 v[11:12], v[15:16], v[11:12], -v[21:22]
	v_fma_f64 v[9:10], v[15:16], v[9:10], v[11:12]
	v_add_f64 v[11:12], v[21:22], v[9:10]
	v_add_f64 v[19:20], v[17:18], -v[11:12]
	v_add_f64 v[21:22], v[11:12], -v[21:22]
	;; [unrolled: 1-line block ×5, first 2 shown]
	v_mov_b32_e32 v17, 0x6b47b09a
	v_mov_b32_e32 v18, 0x3fc38538
	v_add_f64 v[9:10], v[9:10], v[11:12]
	v_add_f64 v[9:10], v[19:20], v[9:10]
	v_mul_f64 v[9:10], v[13:14], v[9:10]
	v_add_f64 v[11:12], v[15:16], v[9:10]
	v_mul_f64 v[13:14], v[11:12], v[11:12]
	v_fma_f64 v[17:18], v[13:14], s[8:9], v[17:18]
	s_mov_b32 s8, 0xe896898f
	s_mov_b32 s9, 0x40ce7437
	v_add_f64 v[19:20], v[7:8], s[8:9]
	s_mov_b32 s8, 0x9b27acf1
	s_mov_b32 s9, 0x3fd24924
	v_mul_f64 v[21:22], v[11:12], v[13:14]
	v_fma_f64 v[17:18], v[13:14], v[17:18], s[12:13]
	s_mov_b32 s12, 0xf0284cdd
	s_mov_b32 s13, 0x41f43f78
	v_fma_f64 v[19:20], v[3:4], v[19:20], s[10:11]
	s_mov_b32 s10, 0x5164d101
	s_mov_b32 s11, 0x41b00763
	;; [unrolled: 3-line block ×3, first 2 shown]
	v_fma_f64 v[19:20], v[3:4], v[19:20], s[12:13]
	v_fma_f64 v[17:18], v[13:14], v[17:18], s[8:9]
	s_mov_b32 s8, 0x576dfcb6
	s_mov_b32 s9, 0x40904522
	v_add_f64 v[7:8], v[7:8], s[8:9]
	s_mov_b32 s8, 0x998ef7b6
	s_mov_b32 s9, 0x3fd99999
	v_fma_f64 v[17:18], v[13:14], v[17:18], s[8:9]
	s_mov_b32 s8, 0xa907bc0c
	s_mov_b32 s9, 0x41231b76
	v_fma_f64 v[7:8], v[3:4], v[7:8], s[8:9]
	;; [unrolled: 3-line block ×3, first 2 shown]
	v_fma_f64 v[17:18], v[3:4], v[19:20], s[14:15]
	v_ldexp_f64 v[19:20], v[11:12], 1
	v_fma_f64 v[7:8], v[3:4], v[7:8], s[10:11]
	s_mov_b32 s6, 0x2b8664bc
	s_mov_b32 s7, 0x42341ddb
	v_add_f64 v[11:12], v[11:12], -v[15:16]
	s_mov_b32 s10, 0xdfeb596d
	v_mul_f64 v[13:14], v[21:22], v[13:14]
	v_frexp_exp_i32_f64_e32 v21, v[1:2]
	s_mov_b32 s11, 0x43268910
	v_fma_f64 v[1:2], v[3:4], v[7:8], s[6:7]
	v_fma_f64 v[7:8], v[3:4], v[17:18], s[28:29]
	s_mov_b32 s6, 0xfefa39ef
	s_mov_b32 s7, 0x3fe62e42
	v_add_f64 v[9:10], v[9:10], -v[11:12]
	v_add_f64 v[15:16], v[19:20], v[13:14]
	v_subbrev_co_u32_e32 v17, vcc, 0, v21, vcc
	v_cvt_f64_i32_e32 v[17:18], v17
	v_fma_f64 v[1:2], v[3:4], v[1:2], s[8:9]
	v_fma_f64 v[7:8], v[3:4], v[7:8], s[30:31]
	s_mov_b32 s8, 0xbcf9b5d0
	v_mul_f64 v[21:22], v[17:18], s[6:7]
	v_add_f64 v[11:12], v[15:16], -v[19:20]
	v_ldexp_f64 v[9:10], v[9:10], 1
	s_mov_b32 s9, 0x438bd25f
	v_fma_f64 v[1:2], v[3:4], v[1:2], s[10:11]
	v_fma_f64 v[7:8], v[3:4], v[7:8], s[50:51]
	v_fma_f64 v[19:20], v[17:18], s[6:7], -v[21:22]
	v_add_f64 v[11:12], v[13:14], -v[11:12]
	s_mov_b32 s6, 0x5906367b
	s_mov_b32 s7, 0xc3506d4b
	v_fma_f64 v[1:2], v[3:4], v[1:2], s[8:9]
	v_fma_f64 v[3:4], v[3:4], v[7:8], s[6:7]
	s_mov_b32 s6, 0x3b39803f
	s_mov_b32 s7, 0x3c7abc9e
	v_fma_f64 v[7:8], v[17:18], s[6:7], v[19:20]
	v_add_f64 v[9:10], v[9:10], v[11:12]
	v_div_scale_f64 v[11:12], s[6:7], v[1:2], v[1:2], v[3:4]
	s_mov_b32 s6, 0x6dc9c883
	v_add_f64 v[13:14], v[21:22], v[7:8]
	v_add_f64 v[17:18], v[15:16], v[9:10]
	s_mov_b32 s7, 0x3fe45f30
	v_add_f64 v[21:22], v[13:14], -v[21:22]
	v_add_f64 v[19:20], v[13:14], v[17:18]
	v_add_f64 v[15:16], v[17:18], -v[15:16]
	v_rcp_f64_e32 v[23:24], v[11:12]
	v_add_f64 v[7:8], v[7:8], -v[21:22]
	v_add_f64 v[25:26], v[19:20], -v[13:14]
	;; [unrolled: 1-line block ×5, first 2 shown]
	v_add_f64 v[21:22], v[7:8], v[9:10]
	v_fma_f64 v[30:31], -v[11:12], v[23:24], 1.0
	v_add_f64 v[13:14], v[13:14], -v[28:29]
	v_add_f64 v[25:26], v[21:22], -v[7:8]
	v_fma_f64 v[17:18], v[23:24], v[30:31], v[23:24]
	v_div_scale_f64 v[23:24], vcc, v[3:4], v[1:2], v[3:4]
	v_add_f64 v[13:14], v[15:16], v[13:14]
	v_add_f64 v[9:10], v[9:10], -v[25:26]
	v_fma_f64 v[15:16], -v[11:12], v[17:18], 1.0
	v_add_f64 v[13:14], v[21:22], v[13:14]
	v_fma_f64 v[15:16], v[17:18], v[15:16], v[17:18]
	v_add_f64 v[17:18], v[21:22], -v[25:26]
	v_add_f64 v[21:22], v[19:20], v[13:14]
	v_mul_f64 v[28:29], v[23:24], v[15:16]
	v_add_f64 v[7:8], v[7:8], -v[17:18]
	v_add_f64 v[17:18], v[21:22], -v[19:20]
	v_fma_f64 v[11:12], -v[11:12], v[28:29], v[23:24]
	v_add_f64 v[7:8], v[9:10], v[7:8]
	v_add_f64 v[9:10], v[13:14], -v[17:18]
	v_div_fmas_f64 v[11:12], v[11:12], v[15:16], v[28:29]
	v_add_f64 v[7:8], v[7:8], v[9:10]
	v_add_f64 v[7:8], v[21:22], v[7:8]
	v_div_fixup_f64 v[1:2], v[11:12], v[1:2], v[3:4]
	v_mul_f64 v[3:4], v[7:8], s[6:7]
	v_fma_f64 v[3:4], v[3:4], v[5:6], v[1:2]
.LBB7_237:
	s_or_b64 exec, exec, s[4:5]
.LBB7_238:
	s_or_b64 exec, exec, s[2:3]
                                        ; implicit-def: $vgpr1_vgpr2
.LBB7_239:
	s_andn2_saveexec_b64 s[6:7], s[0:1]
	s_cbranch_execz .LBB7_249
; %bb.240:
	s_mov_b32 s5, 0xbfe921fb
	s_mov_b32 s4, 0x54442d18
	v_add_f64 v[3:4], v[1:2], s[4:5]
	s_mov_b32 s0, 0
	s_mov_b32 s1, 0x41d00000
                                        ; implicit-def: $vgpr28
                                        ; implicit-def: $vgpr5_vgpr6
                                        ; implicit-def: $vgpr7_vgpr8
	v_cmp_nlt_f64_e64 s[2:3], |v[3:4]|, s[0:1]
	s_and_saveexec_b64 s[0:1], s[2:3]
	s_xor_b64 s[8:9], exec, s[0:1]
	s_cbranch_execz .LBB7_242
; %bb.241:
	v_trig_preop_f64 v[5:6], |v[3:4]|, 0
	s_mov_b32 s0, 0
	s_mov_b32 s1, 0x7b000000
	s_movk_i32 s5, 0xff80
	v_ldexp_f64 v[9:10], |v[3:4]|, s5
	v_cmp_ge_f64_e64 vcc, |v[3:4]|, s[0:1]
	v_trig_preop_f64 v[7:8], |v[3:4]|, 1
	v_and_b32_e32 v11, 0x7fffffff, v4
	v_trig_preop_f64 v[17:18], |v[3:4]|, 2
	s_mov_b32 s0, 0
	s_mov_b32 s1, 0x7ff00000
	v_mov_b32_e32 v28, 0x40100000
	v_mov_b32_e32 v29, 0
	v_cndmask_b32_e32 v10, v11, v10, vcc
	v_cndmask_b32_e32 v9, v3, v9, vcc
	s_mov_b32 s5, 0x3ff921fb
	v_mul_f64 v[11:12], v[5:6], v[9:10]
	v_mul_f64 v[13:14], v[7:8], v[9:10]
	;; [unrolled: 1-line block ×3, first 2 shown]
	v_fma_f64 v[5:6], v[5:6], v[9:10], -v[11:12]
	v_fma_f64 v[7:8], v[7:8], v[9:10], -v[13:14]
	;; [unrolled: 1-line block ×3, first 2 shown]
	v_add_f64 v[15:16], v[13:14], v[5:6]
	v_add_f64 v[19:20], v[15:16], -v[13:14]
	v_add_f64 v[25:26], v[11:12], v[15:16]
	v_add_f64 v[21:22], v[15:16], -v[19:20]
	v_add_f64 v[5:6], v[5:6], -v[19:20]
	v_add_f64 v[19:20], v[23:24], v[7:8]
	v_add_f64 v[11:12], v[25:26], -v[11:12]
	v_add_f64 v[13:14], v[13:14], -v[21:22]
	v_ldexp_f64 v[21:22], v[25:26], -2
	v_add_f64 v[31:32], v[19:20], -v[23:24]
	v_add_f64 v[11:12], v[15:16], -v[11:12]
	v_add_f64 v[5:6], v[5:6], v[13:14]
	v_fract_f64_e32 v[13:14], v[21:22]
	v_cmp_neq_f64_e64 vcc, |v[21:22]|, s[0:1]
	v_add_f64 v[7:8], v[7:8], -v[31:32]
	v_add_f64 v[15:16], v[19:20], v[5:6]
	v_ldexp_f64 v[13:14], v[13:14], 2
	v_add_f64 v[21:22], v[11:12], v[15:16]
	v_cndmask_b32_e32 v14, 0, v14, vcc
	v_cndmask_b32_e32 v13, 0, v13, vcc
	v_add_f64 v[33:34], v[15:16], -v[19:20]
	v_add_f64 v[25:26], v[21:22], v[13:14]
	v_add_f64 v[11:12], v[21:22], -v[11:12]
	v_add_f64 v[35:36], v[15:16], -v[33:34]
	;; [unrolled: 1-line block ×3, first 2 shown]
	v_cmp_gt_f64_e32 vcc, 0, v[25:26]
	v_add_f64 v[25:26], v[19:20], -v[31:32]
	v_add_f64 v[11:12], v[15:16], -v[11:12]
	v_add_f64 v[19:20], v[19:20], -v[35:36]
	v_cndmask_b32_e32 v30, 0, v28, vcc
	v_add_f64 v[13:14], v[13:14], v[29:30]
	v_add_f64 v[25:26], v[23:24], -v[25:26]
	v_add_f64 v[5:6], v[5:6], v[19:20]
	v_add_f64 v[37:38], v[21:22], v[13:14]
	;; [unrolled: 1-line block ×3, first 2 shown]
	v_cvt_i32_f64_e32 v28, v[37:38]
	v_add_f64 v[5:6], v[7:8], v[5:6]
	v_cvt_f64_i32_e32 v[30:31], v28
	v_add_f64 v[13:14], v[13:14], -v[30:31]
	v_add_f64 v[5:6], v[9:10], v[5:6]
	v_add_f64 v[7:8], v[21:22], v[13:14]
	v_add_f64 v[5:6], v[11:12], v[5:6]
	v_mov_b32_e32 v11, 0x3ff00000
	v_add_f64 v[9:10], v[7:8], -v[13:14]
	v_cmp_le_f64_e32 vcc, 0.5, v[7:8]
	v_add_f64 v[9:10], v[21:22], -v[9:10]
	v_cndmask_b32_e32 v30, 0, v11, vcc
	v_add_f64 v[7:8], v[7:8], -v[29:30]
	v_addc_co_u32_e64 v28, s[0:1], 0, v28, vcc
	s_mov_b32 s0, 0x33145c07
	s_mov_b32 s1, 0x3c91a626
	v_add_f64 v[5:6], v[5:6], v[9:10]
	v_add_f64 v[9:10], v[7:8], v[5:6]
	v_mul_f64 v[11:12], v[9:10], s[4:5]
	v_add_f64 v[7:8], v[9:10], -v[7:8]
	v_fma_f64 v[13:14], v[9:10], s[4:5], -v[11:12]
	v_add_f64 v[5:6], v[5:6], -v[7:8]
	v_fma_f64 v[7:8], v[9:10], s[0:1], v[13:14]
	v_fma_f64 v[7:8], v[5:6], s[4:5], v[7:8]
	v_add_f64 v[5:6], v[11:12], v[7:8]
	v_add_f64 v[9:10], v[5:6], -v[11:12]
	v_add_f64 v[7:8], v[7:8], -v[9:10]
	s_andn2_saveexec_b64 s[0:1], s[8:9]
	s_cbranch_execz .LBB7_244
	s_branch .LBB7_243
.LBB7_242:
	s_andn2_saveexec_b64 s[0:1], s[8:9]
	s_cbranch_execz .LBB7_244
.LBB7_243:
	s_mov_b32 s4, 0x6dc9c883
	s_mov_b32 s5, 0x3fe45f30
	v_mul_f64 v[5:6], |v[3:4]|, s[4:5]
	s_mov_b32 s4, 0x54442d18
	s_mov_b32 s5, 0xbff921fb
	;; [unrolled: 1-line block ×4, first 2 shown]
	v_rndne_f64_e32 v[9:10], v[5:6]
	v_fma_f64 v[5:6], v[9:10], s[4:5], |v[3:4]|
	v_mul_f64 v[7:8], v[9:10], s[8:9]
	s_mov_b32 s4, 0x252049c0
	s_mov_b32 s5, 0xb97b839a
	v_cvt_i32_f64_e32 v28, v[9:10]
	v_fma_f64 v[15:16], v[9:10], s[8:9], v[5:6]
	v_add_f64 v[11:12], v[5:6], v[7:8]
	s_mov_b32 s9, 0x3c91a626
	v_add_f64 v[13:14], v[5:6], -v[11:12]
	v_add_f64 v[11:12], v[11:12], -v[15:16]
	v_add_f64 v[5:6], v[13:14], v[7:8]
	v_fma_f64 v[7:8], v[9:10], s[8:9], v[7:8]
	v_add_f64 v[5:6], v[11:12], v[5:6]
	v_add_f64 v[5:6], v[5:6], -v[7:8]
	v_fma_f64 v[7:8], v[9:10], s[4:5], v[5:6]
	v_add_f64 v[5:6], v[15:16], v[7:8]
	v_add_f64 v[11:12], v[5:6], -v[15:16]
	v_add_f64 v[7:8], v[7:8], -v[11:12]
.LBB7_244:
	s_or_b64 exec, exec, s[0:1]
                                        ; implicit-def: $vgpr29
                                        ; implicit-def: $vgpr9_vgpr10
                                        ; implicit-def: $vgpr11_vgpr12
	s_and_saveexec_b64 s[0:1], s[2:3]
	s_xor_b64 s[2:3], exec, s[0:1]
	s_cbranch_execz .LBB7_246
; %bb.245:
	v_trig_preop_f64 v[9:10], |v[3:4]|, 0
	s_mov_b32 s0, 0
	s_mov_b32 s1, 0x7b000000
	s_movk_i32 s4, 0xff80
	v_ldexp_f64 v[13:14], |v[3:4]|, s4
	v_cmp_ge_f64_e64 vcc, |v[3:4]|, s[0:1]
	v_trig_preop_f64 v[11:12], |v[3:4]|, 1
	v_and_b32_e32 v15, 0x7fffffff, v4
	v_trig_preop_f64 v[21:22], |v[3:4]|, 2
	s_mov_b32 s0, 0
	s_mov_b32 s1, 0x7ff00000
	v_mov_b32_e32 v34, 0x40100000
	v_mov_b32_e32 v33, 0
	v_cndmask_b32_e32 v14, v15, v14, vcc
	v_cndmask_b32_e32 v13, v3, v13, vcc
	s_mov_b32 s4, 0x33145c07
	v_mul_f64 v[15:16], v[9:10], v[13:14]
	s_mov_b32 s5, 0x3c91a626
	v_mul_f64 v[17:18], v[11:12], v[13:14]
	v_mul_f64 v[29:30], v[21:22], v[13:14]
	v_fma_f64 v[9:10], v[9:10], v[13:14], -v[15:16]
	v_fma_f64 v[11:12], v[11:12], v[13:14], -v[17:18]
	;; [unrolled: 1-line block ×3, first 2 shown]
	v_add_f64 v[19:20], v[17:18], v[9:10]
	v_add_f64 v[23:24], v[19:20], -v[17:18]
	v_add_f64 v[31:32], v[15:16], v[19:20]
	v_add_f64 v[25:26], v[19:20], -v[23:24]
	v_add_f64 v[9:10], v[9:10], -v[23:24]
	v_add_f64 v[23:24], v[29:30], v[11:12]
	v_add_f64 v[15:16], v[31:32], -v[15:16]
	v_add_f64 v[17:18], v[17:18], -v[25:26]
	v_ldexp_f64 v[25:26], v[31:32], -2
	v_add_f64 v[35:36], v[23:24], -v[29:30]
	v_add_f64 v[15:16], v[19:20], -v[15:16]
	v_add_f64 v[9:10], v[9:10], v[17:18]
	v_fract_f64_e32 v[17:18], v[25:26]
	v_cmp_neq_f64_e64 vcc, |v[25:26]|, s[0:1]
	v_add_f64 v[11:12], v[11:12], -v[35:36]
	v_add_f64 v[19:20], v[23:24], v[9:10]
	v_ldexp_f64 v[17:18], v[17:18], 2
	v_add_f64 v[25:26], v[15:16], v[19:20]
	v_cndmask_b32_e32 v18, 0, v18, vcc
	v_cndmask_b32_e32 v17, 0, v17, vcc
	v_add_f64 v[37:38], v[19:20], -v[23:24]
	v_add_f64 v[31:32], v[25:26], v[17:18]
	v_add_f64 v[15:16], v[25:26], -v[15:16]
	v_add_f64 v[39:40], v[19:20], -v[37:38]
	;; [unrolled: 1-line block ×3, first 2 shown]
	v_cmp_gt_f64_e32 vcc, 0, v[31:32]
	v_add_f64 v[31:32], v[23:24], -v[35:36]
	v_add_f64 v[15:16], v[19:20], -v[15:16]
	;; [unrolled: 1-line block ×3, first 2 shown]
	v_cndmask_b32_e32 v34, 0, v34, vcc
	v_add_f64 v[17:18], v[17:18], v[33:34]
	v_add_f64 v[31:32], v[29:30], -v[31:32]
	v_add_f64 v[9:10], v[9:10], v[23:24]
	v_add_f64 v[41:42], v[25:26], v[17:18]
	;; [unrolled: 1-line block ×3, first 2 shown]
	v_cvt_i32_f64_e32 v36, v[41:42]
	v_add_f64 v[9:10], v[11:12], v[9:10]
	v_cvt_f64_i32_e32 v[34:35], v36
	v_add_f64 v[17:18], v[17:18], -v[34:35]
	v_add_f64 v[9:10], v[13:14], v[9:10]
	v_add_f64 v[11:12], v[25:26], v[17:18]
	;; [unrolled: 1-line block ×3, first 2 shown]
	v_mov_b32_e32 v15, 0x3ff00000
	v_add_f64 v[13:14], v[11:12], -v[17:18]
	v_cmp_le_f64_e32 vcc, 0.5, v[11:12]
	v_add_f64 v[13:14], v[25:26], -v[13:14]
	v_cndmask_b32_e32 v34, 0, v15, vcc
	v_add_f64 v[11:12], v[11:12], -v[33:34]
	v_addc_co_u32_e64 v29, s[0:1], 0, v36, vcc
	s_mov_b32 s0, 0x54442d18
	s_mov_b32 s1, 0x3ff921fb
	v_add_f64 v[9:10], v[9:10], v[13:14]
	v_add_f64 v[13:14], v[11:12], v[9:10]
	v_mul_f64 v[15:16], v[13:14], s[0:1]
	v_add_f64 v[11:12], v[13:14], -v[11:12]
	v_fma_f64 v[17:18], v[13:14], s[0:1], -v[15:16]
	v_add_f64 v[9:10], v[9:10], -v[11:12]
	v_fma_f64 v[11:12], v[13:14], s[4:5], v[17:18]
	v_fma_f64 v[11:12], v[9:10], s[0:1], v[11:12]
	v_add_f64 v[9:10], v[15:16], v[11:12]
	v_add_f64 v[13:14], v[9:10], -v[15:16]
	v_add_f64 v[11:12], v[11:12], -v[13:14]
	s_andn2_saveexec_b64 s[0:1], s[2:3]
	s_cbranch_execnz .LBB7_247
	s_branch .LBB7_248
.LBB7_246:
	s_andn2_saveexec_b64 s[0:1], s[2:3]
	s_cbranch_execz .LBB7_248
.LBB7_247:
	s_mov_b32 s2, 0x6dc9c883
	s_mov_b32 s3, 0x3fe45f30
	v_mul_f64 v[9:10], |v[3:4]|, s[2:3]
	s_mov_b32 s2, 0x54442d18
	s_mov_b32 s3, 0xbff921fb
	;; [unrolled: 1-line block ×4, first 2 shown]
	v_rndne_f64_e32 v[13:14], v[9:10]
	v_fma_f64 v[9:10], v[13:14], s[2:3], |v[3:4]|
	v_mul_f64 v[11:12], v[13:14], s[4:5]
	s_mov_b32 s2, 0x252049c0
	s_mov_b32 s3, 0xb97b839a
	v_cvt_i32_f64_e32 v29, v[13:14]
	v_fma_f64 v[19:20], v[13:14], s[4:5], v[9:10]
	v_add_f64 v[15:16], v[9:10], v[11:12]
	s_mov_b32 s5, 0x3c91a626
	v_add_f64 v[17:18], v[9:10], -v[15:16]
	v_add_f64 v[15:16], v[15:16], -v[19:20]
	v_add_f64 v[9:10], v[17:18], v[11:12]
	v_fma_f64 v[11:12], v[13:14], s[4:5], v[11:12]
	v_add_f64 v[9:10], v[15:16], v[9:10]
	v_add_f64 v[9:10], v[9:10], -v[11:12]
	v_fma_f64 v[11:12], v[13:14], s[2:3], v[9:10]
	v_add_f64 v[9:10], v[19:20], v[11:12]
	v_add_f64 v[15:16], v[9:10], -v[19:20]
	v_add_f64 v[11:12], v[11:12], -v[15:16]
.LBB7_248:
	s_or_b64 exec, exec, s[0:1]
	v_mul_f64 v[13:14], v[1:2], v[1:2]
	s_mov_b32 s10, 0
	s_mov_b32 s11, 0x40390000
	;; [unrolled: 1-line block ×7, first 2 shown]
	v_div_scale_f64 v[15:16], s[0:1], v[13:14], v[13:14], s[10:11]
	s_mov_b32 s28, 0xc9b3069f
	s_mov_b32 s9, 0x3ff3d521
	;; [unrolled: 1-line block ×14, first 2 shown]
	v_rcp_f64_e32 v[17:18], v[15:16]
	s_brev_b32 s61, 8
	s_mov_b32 s58, 0xb42fdfa7
	s_mov_b32 s59, 0xbe5ae600
	v_mov_b32_e32 v54, s58
	v_mov_b32_e32 v55, s59
	;; [unrolled: 1-line block ×3, first 2 shown]
	s_mov_b32 s52, 0x19e83e5c
	s_mov_b32 s53, 0xbf2a01a0
	v_and_b32_e32 v62, 1, v28
	v_fma_f64 v[19:20], -v[15:16], v[17:18], 1.0
	v_fma_f64 v[17:18], v[17:18], v[19:20], v[17:18]
	v_div_scale_f64 v[19:20], vcc, s[10:11], v[13:14], s[10:11]
	v_fma_f64 v[21:22], -v[15:16], v[17:18], 1.0
	v_fma_f64 v[17:18], v[17:18], v[21:22], v[17:18]
	v_mul_f64 v[21:22], v[19:20], v[17:18]
	v_fma_f64 v[15:16], -v[15:16], v[21:22], v[19:20]
	v_div_fmas_f64 v[15:16], v[15:16], v[17:18], v[21:22]
	v_mov_b32_e32 v17, 0x983b6b27
	v_mov_b32_e32 v18, 0x3f4a1d30
	;; [unrolled: 1-line block ×4, first 2 shown]
	v_div_fixup_f64 v[19:20], v[15:16], v[13:14], s[10:11]
	s_mov_b32 s10, 0xea1b21a1
	s_mov_b32 s11, 0x40218618
	v_fma_f64 v[13:14], v[19:20], 0, v[21:22]
	v_fma_f64 v[15:16], v[19:20], 0, v[17:18]
	v_mov_b32_e32 v17, 0x38a5384a
	v_mov_b32_e32 v18, 0xbf874742
	v_fma_f64 v[17:18], v[19:20], 0, v[17:18]
	v_mov_b32_e32 v21, 0x413c25ac
	v_mov_b32_e32 v22, 0x40501457
	v_fma_f64 v[21:22], v[19:20], 0, v[21:22]
	v_fma_f64 v[13:14], v[19:20], v[13:14], s[14:15]
	v_fma_f64 v[15:16], v[19:20], v[15:16], s[12:13]
	s_mov_b32 s12, 0x3a321174
	s_mov_b32 s13, 0xbff4853b
	v_fma_f64 v[17:18], v[19:20], v[17:18], s[12:13]
	s_mov_b32 s12, 0xb1759c7f
	s_mov_b32 s13, 0x408ac370
	v_fma_f64 v[21:22], v[19:20], v[21:22], s[12:13]
	v_fma_f64 v[13:14], v[19:20], v[13:14], s[28:29]
	v_fma_f64 v[15:16], v[19:20], v[15:16], s[8:9]
	s_mov_b32 s8, 0xf50e2c0c
	s_mov_b32 s9, 0xc0338dcf
	v_fma_f64 v[17:18], v[19:20], v[17:18], s[8:9]
	s_mov_b32 s8, 0xbd748cb5
	s_mov_b32 s9, 0x40ae54cd
	;; [unrolled: 8-line block ×5, first 2 shown]
	s_mov_b32 s1, 0xc049b48c
	v_fma_f64 v[13:14], v[19:20], v[13:14], 1.0
	v_fma_f64 v[15:16], v[19:20], v[15:16], 1.0
	s_mov_b32 s3, 0x40a01c2f
	v_fma_f64 v[23:24], v[19:20], v[21:22], s[2:3]
	v_fma_f64 v[25:26], v[19:20], v[17:18], s[0:1]
	s_mov_b32 s2, 0x6280a54
	s_mov_b32 s8, 0
	;; [unrolled: 1-line block ×4, first 2 shown]
	v_div_scale_f64 v[21:22], s[0:1], v[13:14], v[13:14], v[15:16]
	s_mov_b32 s0, 0xd1b9a1dd
	s_mov_b32 s1, 0xc0183358
	v_fma_f64 v[17:18], v[19:20], v[23:24], s[2:3]
	v_fma_f64 v[19:20], v[19:20], v[25:26], s[0:1]
	v_div_scale_f64 v[25:26], s[0:1], v[1:2], v[1:2], s[8:9]
	v_div_scale_f64 v[40:41], vcc, v[15:16], v[13:14], v[15:16]
	v_mul_f64 v[23:24], v[5:6], v[5:6]
	s_mov_b32 s30, 0xf9a43bb8
	s_mov_b32 s31, 0x3de5e0b2
	v_div_scale_f64 v[30:31], s[0:1], v[17:18], v[17:18], v[19:20]
	v_div_scale_f64 v[48:49], s[4:5], v[19:20], v[17:18], v[19:20]
	v_rcp_f64_e32 v[32:33], v[21:22]
	s_mov_b32 s0, 0x9037ab78
	s_mov_b32 s1, 0x3e21eeb6
	v_fma_f64 v[58:59], v[23:24], s[30:31], v[54:55]
	s_mov_b32 s28, 0x46cc5e42
	v_rcp_f64_e32 v[34:35], v[25:26]
	s_mov_b32 s50, 0x796cde01
	s_mov_b32 s29, 0xbda907db
	;; [unrolled: 1-line block ×6, first 2 shown]
	v_rcp_f64_e32 v[36:37], v[30:31]
	s_mov_b32 s15, 0x3f811111
	s_mov_b32 s10, 0x19f4ec90
	;; [unrolled: 1-line block ×3, first 2 shown]
	v_fma_f64 v[38:39], -v[21:22], v[32:33], 1.0
	v_fma_f64 v[32:33], v[32:33], v[38:39], v[32:33]
	v_fma_f64 v[38:39], -v[25:26], v[34:35], 1.0
	v_fma_f64 v[42:43], -v[30:31], v[36:37], 1.0
	;; [unrolled: 1-line block ×3, first 2 shown]
	v_fma_f64 v[34:35], v[34:35], v[38:39], v[34:35]
	v_mul_f64 v[38:39], v[7:8], 0.5
	v_fma_f64 v[36:37], v[36:37], v[42:43], v[36:37]
	v_mul_f64 v[42:43], v[9:10], v[9:10]
	v_fma_f64 v[32:33], v[32:33], v[44:45], v[32:33]
	v_div_scale_f64 v[44:45], s[2:3], s[8:9], v[1:2], s[8:9]
	v_fma_f64 v[46:47], -v[25:26], v[34:35], 1.0
	v_fma_f64 v[50:51], -v[30:31], v[36:37], 1.0
	v_fma_f64 v[54:55], v[42:43], s[30:31], v[54:55]
	v_mul_f64 v[52:53], v[40:41], v[32:33]
	v_fma_f64 v[34:35], v[34:35], v[46:47], v[34:35]
	v_mov_b32_e32 v47, s1
	v_mov_b32_e32 v46, s0
	v_fma_f64 v[36:37], v[36:37], v[50:51], v[36:37]
	v_cmp_gt_f64_e64 s[0:1], s[60:61], v[1:2]
	v_fma_f64 v[21:22], -v[21:22], v[52:53], v[40:41]
	v_mul_f64 v[50:51], v[44:45], v[34:35]
	v_mul_f64 v[60:61], v[48:49], v[36:37]
	v_cndmask_b32_e64 v40, 0, v56, s[0:1]
	v_mul_f64 v[56:57], v[23:24], 0.5
	v_div_fmas_f64 v[21:22], v[21:22], v[32:33], v[52:53]
	v_mul_f64 v[32:33], v[42:43], 0.5
	v_fma_f64 v[25:26], -v[25:26], v[50:51], v[44:45]
	v_ldexp_f64 v[40:41], v[1:2], v40
	v_fma_f64 v[52:53], v[23:24], s[28:29], v[46:47]
	v_fma_f64 v[44:45], v[42:43], s[28:29], v[46:47]
	;; [unrolled: 1-line block ×3, first 2 shown]
	s_mov_b64 vcc, s[2:3]
	v_add_f64 v[58:59], -v[56:57], 1.0
	v_fma_f64 v[30:31], -v[30:31], v[60:61], v[48:49]
	v_add_f64 v[48:49], -v[32:33], 1.0
	v_div_fmas_f64 v[25:26], v[25:26], v[34:35], v[50:51]
	v_fma_f64 v[50:51], v[42:43], v[54:55], s[50:51]
	v_rsq_f64_e32 v[34:35], v[40:41]
	v_fma_f64 v[46:47], v[23:24], v[46:47], s[52:53]
	s_mov_b64 vcc, s[4:5]
	v_add_f64 v[54:55], -v[58:59], 1.0
	v_div_fmas_f64 v[30:31], v[30:31], v[36:37], v[60:61]
	v_add_f64 v[36:37], -v[48:49], 1.0
	v_fma_f64 v[52:53], v[23:24], v[52:53], s[12:13]
	v_fma_f64 v[50:51], v[42:43], v[50:51], s[52:53]
	;; [unrolled: 1-line block ×3, first 2 shown]
	v_mul_f64 v[60:61], v[5:6], -v[23:24]
	v_fma_f64 v[46:47], v[23:24], v[46:47], s[14:15]
	v_add_f64 v[54:55], v[54:55], -v[56:57]
	v_mul_f64 v[56:57], v[11:12], 0.5
	v_add_f64 v[32:33], v[36:37], -v[32:33]
	v_mul_f64 v[36:37], v[9:10], -v[42:43]
	v_fma_f64 v[50:51], v[42:43], v[50:51], s[14:15]
	v_fma_f64 v[52:53], v[23:24], v[52:53], s[10:11]
	;; [unrolled: 1-line block ×4, first 2 shown]
	v_mul_f64 v[46:47], v[40:41], v[34:35]
	v_mul_f64 v[34:35], v[34:35], 0.5
	s_mov_b32 s2, 0x16c16967
	s_mov_b32 s3, 0xbf56c16c
	v_fma_f64 v[50:51], v[36:37], v[50:51], v[56:57]
	v_fma_f64 v[52:53], v[23:24], v[52:53], s[2:3]
	;; [unrolled: 1-line block ×3, first 2 shown]
	v_fma_f64 v[54:55], v[5:6], -v[7:8], v[54:55]
	v_fma_f64 v[7:8], v[23:24], v[38:39], -v[7:8]
	v_fma_f64 v[56:57], -v[34:35], v[46:47], 0.5
	s_mov_b32 s4, 0x55555555
	s_mov_b32 s5, 0x3fa55555
	v_fma_f64 v[50:51], v[42:43], v[50:51], -v[11:12]
	v_fma_f64 v[38:39], v[23:24], v[52:53], s[4:5]
	v_mul_f64 v[23:24], v[23:24], v[23:24]
	v_fma_f64 v[44:45], v[42:43], v[44:45], s[4:5]
	v_mul_f64 v[42:43], v[42:43], v[42:43]
	v_fma_f64 v[11:12], v[9:10], -v[11:12], v[32:33]
	s_mov_b32 s11, 0xbfc55555
	v_fma_f64 v[46:47], v[46:47], v[56:57], v[46:47]
	s_mov_b32 s10, s4
	v_fma_f64 v[7:8], v[60:61], s[10:11], v[7:8]
	v_fma_f64 v[36:37], v[36:37], s[10:11], v[50:51]
	;; [unrolled: 1-line block ×5, first 2 shown]
	v_div_fixup_f64 v[1:2], v[25:26], v[1:2], s[8:9]
	v_fma_f64 v[34:35], -v[46:47], v[46:47], v[40:41]
	s_movk_i32 s2, 0x1f8
	v_add_f64 v[5:6], v[5:6], -v[7:8]
	v_add_f64 v[7:8], v[9:10], -v[36:37]
	v_div_fixup_f64 v[9:10], v[30:31], v[17:18], v[19:20]
	v_add_f64 v[23:24], v[58:59], v[23:24]
	v_add_f64 v[11:12], v[48:49], v[11:12]
	v_cmp_class_f64_e64 s[2:3], v[3:4], s2
	v_fma_f64 v[34:35], v[34:35], v[32:33], v[46:47]
	v_and_b32_e32 v39, 1, v29
	v_cmp_eq_u32_e32 vcc, 0, v62
	v_lshlrev_b32_e32 v29, 30, v29
	v_mul_f64 v[1:2], v[1:2], v[9:10]
	v_cndmask_b32_e32 v5, v23, v5, vcc
	v_xor_b32_e32 v8, 0x80000000, v8
	v_cmp_eq_u32_e64 s[4:5], 0, v39
	v_and_b32_e32 v19, 0x80000000, v29
	v_cndmask_b32_e64 v3, 0, v5, s[2:3]
	v_cndmask_b32_e64 v5, v8, v12, s[4:5]
	v_mov_b32_e32 v38, 0x7ff80000
	v_cndmask_b32_e64 v7, v7, v11, s[4:5]
	v_xor_b32_e32 v5, v5, v19
	v_fma_f64 v[17:18], -v[34:35], v[34:35], v[40:41]
	v_cndmask_b32_e64 v7, 0, v7, s[2:3]
	v_cndmask_b32_e64 v8, v38, v5, s[2:3]
	v_div_fixup_f64 v[9:10], v[21:22], v[13:14], v[15:16]
	v_mul_f64 v[1:2], v[1:2], v[7:8]
	v_lshlrev_b32_e32 v5, 30, v28
	v_xor_b32_e32 v4, v5, v4
	v_and_b32_e32 v4, 0x80000000, v4
	v_cndmask_b32_e32 v7, v24, v6, vcc
	v_xor_b32_e32 v4, v7, v4
	v_fma_f64 v[5:6], v[17:18], v[32:33], v[34:35]
	v_cndmask_b32_e64 v4, v38, v4, s[2:3]
	v_fma_f64 v[1:2], v[9:10], v[3:4], v[1:2]
	v_mov_b32_e32 v3, 0xffffff80
	s_mov_b32 s2, 0x33d43651
	v_mov_b32_e32 v7, 0x260
	v_cndmask_b32_e64 v3, 0, v3, s[0:1]
	s_mov_b32 s3, 0x3fe98845
	v_ldexp_f64 v[3:4], v[5:6], v3
	v_cmp_class_f64_e32 vcc, v[40:41], v7
	v_mul_f64 v[1:2], v[1:2], s[2:3]
	v_cndmask_b32_e32 v4, v4, v41, vcc
	v_cndmask_b32_e32 v3, v3, v40, vcc
	v_div_scale_f64 v[5:6], s[0:1], v[3:4], v[3:4], v[1:2]
	v_div_scale_f64 v[11:12], vcc, v[1:2], v[3:4], v[1:2]
	v_rcp_f64_e32 v[7:8], v[5:6]
	v_fma_f64 v[9:10], -v[5:6], v[7:8], 1.0
	v_fma_f64 v[7:8], v[7:8], v[9:10], v[7:8]
	v_fma_f64 v[9:10], -v[5:6], v[7:8], 1.0
	v_fma_f64 v[7:8], v[7:8], v[9:10], v[7:8]
	v_mul_f64 v[9:10], v[11:12], v[7:8]
	v_fma_f64 v[5:6], -v[5:6], v[9:10], v[11:12]
	v_div_fmas_f64 v[5:6], v[5:6], v[7:8], v[9:10]
	v_div_fixup_f64 v[3:4], v[5:6], v[3:4], v[1:2]
.LBB7_249:
	s_or_b64 exec, exec, s[6:7]
	v_add_u32_e32 v27, 0x80, v27
	global_store_dwordx2 v0, v[3:4], s[16:17]
	s_or_b64 exec, exec, s[48:49]
	v_cmp_gt_i32_e32 vcc, s55, v27
	s_and_saveexec_b64 s[48:49], vcc
	s_cbranch_execz .LBB7_220
.LBB7_250:
	s_andn2_b64 vcc, exec, s[36:37]
	s_cbranch_vccnz .LBB7_255
; %bb.251:
	s_andn2_b64 vcc, exec, s[46:47]
	s_cbranch_vccnz .LBB7_256
; %bb.252:
	s_add_i32 s56, s56, 1
	s_cmp_eq_u32 s54, 2
	s_cbranch_scc1 .LBB7_257
; %bb.253:
	s_and_b32 s50, s56, 28
	v_mov_b32_e32 v2, 0
	s_mov_b32 s51, 0
	s_mov_b64 s[46:47], s[34:35]
	v_mov_b32_e32 v0, 0
	v_mov_b32_e32 v1, v27
.LBB7_254:                              ; =>This Inner Loop Header: Depth=1
	s_load_dwordx8 s[8:15], s[46:47], 0x4
	s_load_dwordx4 s[28:31], s[46:47], 0x24
	s_load_dwordx8 s[0:7], s[44:45], 0x0
	s_add_u32 s46, s46, 48
	s_addc_u32 s47, s47, 0
	s_waitcnt lgkmcnt(0)
	v_mul_hi_u32 v3, s9, v1
	s_add_i32 s51, s51, 4
	s_add_u32 s44, s44, 32
	s_addc_u32 s45, s45, 0
	v_add_u32_e32 v3, v1, v3
	v_lshrrev_b32_e32 v3, s10, v3
	v_mul_lo_u32 v4, v3, s8
	v_mul_hi_u32 v5, s12, v3
	s_cmp_eq_u32 s50, s51
	v_sub_u32_e32 v1, v1, v4
	v_add_u32_e32 v4, v3, v5
	v_mul_lo_u32 v5, v1, s0
	v_mul_lo_u32 v6, v1, s1
	v_lshrrev_b32_e32 v1, s13, v4
	v_mul_lo_u32 v4, v1, s11
	v_mul_hi_u32 v7, s15, v1
	v_sub_u32_e32 v3, v3, v4
	v_add_u32_e32 v4, v1, v7
	v_lshrrev_b32_e32 v4, s28, v4
	v_mul_hi_u32 v8, s30, v4
	v_mul_lo_u32 v9, v4, s14
	v_mul_lo_u32 v7, v3, s2
	;; [unrolled: 1-line block ×3, first 2 shown]
	v_sub_u32_e32 v9, v1, v9
	v_add_u32_e32 v1, v4, v8
	v_lshrrev_b32_e32 v1, s31, v1
	v_mul_lo_u32 v8, v1, s29
	v_mul_lo_u32 v10, v9, s4
	;; [unrolled: 1-line block ×3, first 2 shown]
	v_add3_u32 v0, v5, v0, v7
	v_sub_u32_e32 v4, v4, v8
	v_mul_lo_u32 v8, v4, s6
	v_mul_lo_u32 v4, v4, s7
	v_add3_u32 v2, v6, v2, v3
	v_add3_u32 v0, v10, v0, v8
	;; [unrolled: 1-line block ×3, first 2 shown]
	s_cbranch_scc0 .LBB7_254
	s_branch .LBB7_258
.LBB7_255:
                                        ; implicit-def: $vgpr0
                                        ; implicit-def: $vgpr2
	s_branch .LBB7_262
.LBB7_256:
	v_mov_b32_e32 v0, 0
	v_mov_b32_e32 v2, 0
	s_branch .LBB7_261
.LBB7_257:
	s_mov_b32 s50, 0
	v_mov_b32_e32 v0, 0
	v_mov_b32_e32 v2, 0
	;; [unrolled: 1-line block ×3, first 2 shown]
.LBB7_258:
	s_and_b32 s4, s56, 3
	s_cmp_eq_u32 s4, 0
	s_cbranch_scc1 .LBB7_261
; %bb.259:
	s_lshl_b32 s0, s50, 3
	s_add_u32 s0, s34, s0
	s_addc_u32 s1, s35, 0
	s_add_u32 s0, s0, 0xc4
	s_addc_u32 s1, s1, 0
	s_mul_i32 s2, s50, 12
	s_add_u32 s2, s34, s2
	s_addc_u32 s3, s35, 0
.LBB7_260:                              ; =>This Inner Loop Header: Depth=1
	s_load_dwordx2 s[6:7], s[2:3], 0x4
	s_load_dword s5, s[2:3], 0xc
	s_load_dwordx2 s[8:9], s[0:1], 0x0
	s_add_u32 s2, s2, 12
	s_addc_u32 s3, s3, 0
	s_waitcnt lgkmcnt(0)
	v_mul_hi_u32 v3, s7, v1
	s_add_u32 s0, s0, 8
	s_addc_u32 s1, s1, 0
	s_add_i32 s4, s4, -1
	v_add_u32_e32 v3, v1, v3
	v_lshrrev_b32_e32 v4, s5, v3
	v_mul_lo_u32 v3, v4, s6
	s_cmp_lg_u32 s4, 0
	v_sub_u32_e32 v3, v1, v3
	v_mad_u64_u32 v[0:1], s[6:7], v3, s8, v[0:1]
	v_mad_u64_u32 v[2:3], s[6:7], v3, s9, v[2:3]
	v_mov_b32_e32 v1, v4
	s_cbranch_scc1 .LBB7_260
.LBB7_261:
	s_cbranch_execnz .LBB7_264
.LBB7_262:
	s_waitcnt lgkmcnt(0)
	v_mul_hi_u32 v0, s25, v27
	s_andn2_b64 vcc, exec, s[42:43]
	v_add_u32_e32 v0, v27, v0
	v_lshrrev_b32_e32 v1, s26, v0
	v_mul_lo_u32 v0, v1, s24
	v_sub_u32_e32 v2, v27, v0
	v_mul_lo_u32 v0, v2, s20
	v_mul_lo_u32 v2, v2, s21
	s_cbranch_vccnz .LBB7_264
; %bb.263:
	v_mul_hi_u32 v3, s40, v1
	v_add_u32_e32 v3, v1, v3
	v_lshrrev_b32_e32 v3, s41, v3
	v_mul_lo_u32 v3, v3, s27
	v_sub_u32_e32 v3, v1, v3
	v_mad_u64_u32 v[0:1], s[0:1], v3, s22, v[0:1]
	v_mad_u64_u32 v[2:3], s[0:1], v3, s23, v[2:3]
.LBB7_264:
	s_waitcnt lgkmcnt(0)
	global_load_dwordx2 v[1:2], v2, s[18:19]
	s_mov_b32 s0, 0
	s_mov_b32 s1, 0x40140000
                                        ; implicit-def: $vgpr3_vgpr4
	s_waitcnt vmcnt(0)
	v_cmp_ge_f64_e32 vcc, s[0:1], v[1:2]
	s_and_saveexec_b64 s[0:1], vcc
	s_xor_b64 s[0:1], exec, s[0:1]
	s_cbranch_execz .LBB7_274
; %bb.265:
	v_cmp_neq_f64_e32 vcc, 0, v[1:2]
	v_mov_b32_e32 v3, 0
	v_mov_b32_e32 v4, 0xfff00000
	s_and_saveexec_b64 s[2:3], vcc
	s_cbranch_execz .LBB7_273
; %bb.266:
	v_cmp_ngt_f64_e32 vcc, 0, v[1:2]
	v_mov_b32_e32 v3, 0
	v_mov_b32_e32 v4, 0x7ff80000
	s_and_saveexec_b64 s[4:5], vcc
	s_cbranch_execz .LBB7_272
; %bb.267:
	v_mul_f64 v[3:4], v[1:2], v[1:2]
	s_mov_b32 s6, 0x88e368f1
	s_mov_b32 s7, 0x3ee4f8b5
	v_cmp_ngt_f64_e32 vcc, s[6:7], v[1:2]
                                        ; implicit-def: $vgpr5_vgpr6
	v_mul_f64 v[7:8], v[3:4], 0
	s_and_saveexec_b64 s[6:7], vcc
	s_xor_b64 s[6:7], exec, s[6:7]
	s_cbranch_execz .LBB7_269
; %bb.268:
	s_mov_b32 s8, 0xa696b78c
	s_mov_b32 s9, 0x407f3902
	v_add_f64 v[5:6], v[7:8], s[8:9]
	s_mov_b32 s8, 0x36a21a67
	s_mov_b32 s9, 0x410536cb
	;; [unrolled: 1-line block ×7, first 2 shown]
	v_fma_f64 v[5:6], v[3:4], v[5:6], s[8:9]
	s_mov_b32 s8, 0x2eac0634
	s_mov_b32 s9, 0x41871934
	;; [unrolled: 1-line block ×3, first 2 shown]
	v_fma_f64 v[5:6], v[3:4], v[5:6], s[8:9]
	s_mov_b32 s8, 0xad1c8325
	s_mov_b32 s9, 0xc1f1dc53
	v_add_f64 v[9:10], v[7:8], s[8:9]
	s_mov_b32 s8, 0xe0d900f7
	s_mov_b32 s9, 0xc2ec5614
	v_fma_f64 v[5:6], v[3:4], v[5:6], s[12:13]
	s_mov_b32 s12, 0x72182e46
	s_mov_b32 s13, 0x427ebeb3
	v_fma_f64 v[9:10], v[3:4], v[9:10], s[10:11]
	s_mov_b32 s10, 0x80462bbb
	s_mov_b32 s11, 0xc01721fb
	v_add_f64 v[11:12], v[3:4], s[10:11]
	s_mov_b32 s10, 0x69ff5fb4
	v_fma_f64 v[5:6], v[3:4], v[5:6], s[12:13]
	s_mov_b32 s12, 0xa621dd6f
	s_mov_b32 s13, 0xc03e78a4
	v_add_f64 v[13:14], v[3:4], s[12:13]
	v_fma_f64 v[9:10], v[3:4], v[9:10], s[8:9]
	s_mov_b32 s8, 0x7e7b2e9c
	s_mov_b32 s9, 0x435c4141
	;; [unrolled: 1-line block ×3, first 2 shown]
	v_fma_f64 v[5:6], v[3:4], v[5:6], s[14:15]
	v_mul_f64 v[11:12], v[11:12], v[13:14]
	v_fma_f64 v[9:10], v[3:4], v[9:10], s[10:11]
	v_fma_f64 v[5:6], v[3:4], v[5:6], s[8:9]
	s_mov_b32 s8, 0xc7b662cc
	s_mov_b32 s9, 0x43b7be34
	v_mul_f64 v[9:10], v[11:12], v[9:10]
	v_fma_f64 v[5:6], v[3:4], v[5:6], s[8:9]
	v_div_scale_f64 v[11:12], s[8:9], v[5:6], v[5:6], v[9:10]
	v_div_scale_f64 v[17:18], vcc, v[9:10], v[5:6], v[9:10]
	v_rcp_f64_e32 v[13:14], v[11:12]
	v_fma_f64 v[15:16], -v[11:12], v[13:14], 1.0
	v_fma_f64 v[13:14], v[13:14], v[15:16], v[13:14]
	v_fma_f64 v[15:16], -v[11:12], v[13:14], 1.0
	v_fma_f64 v[13:14], v[13:14], v[15:16], v[13:14]
	v_mul_f64 v[15:16], v[17:18], v[13:14]
	v_fma_f64 v[11:12], -v[11:12], v[15:16], v[17:18]
	v_div_fmas_f64 v[11:12], v[11:12], v[13:14], v[15:16]
	v_div_fixup_f64 v[5:6], v[11:12], v[5:6], v[9:10]
.LBB7_269:
	s_andn2_saveexec_b64 s[6:7], s[6:7]
	s_cbranch_execz .LBB7_271
; %bb.270:
	s_mov_b32 s8, 0
	s_mov_b32 s9, 0xbfd00000
	v_fma_f64 v[5:6], v[3:4], s[8:9], 1.0
.LBB7_271:
	s_or_b64 exec, exec, s[6:7]
	v_frexp_mant_f64_e32 v[9:10], v[1:2]
	s_mov_b32 s7, 0x3fe55555
	s_mov_b32 s6, 0x55555555
	;; [unrolled: 1-line block ×7, first 2 shown]
	v_cmp_gt_f64_e32 vcc, s[6:7], v[9:10]
	s_mov_b32 s21, 0x3fcc71c0
	s_mov_b32 s10, 0x32e48896
	;; [unrolled: 1-line block ×7, first 2 shown]
	v_cndmask_b32_e64 v11, 0, 1, vcc
	v_ldexp_f64 v[9:10], v[9:10], v11
	s_mov_b32 s19, 0x42d3ea72
	s_mov_b32 s22, 0x660b4003
	;; [unrolled: 1-line block ×3, first 2 shown]
	v_add_f64 v[11:12], v[9:10], 1.0
	v_add_f64 v[17:18], v[9:10], -1.0
	v_rcp_f64_e32 v[13:14], v[11:12]
	v_add_f64 v[19:20], v[11:12], -1.0
	v_add_f64 v[9:10], v[9:10], -v[19:20]
	v_fma_f64 v[15:16], -v[11:12], v[13:14], 1.0
	v_fma_f64 v[13:14], v[15:16], v[13:14], v[13:14]
	v_fma_f64 v[15:16], -v[11:12], v[13:14], 1.0
	v_fma_f64 v[13:14], v[15:16], v[13:14], v[13:14]
	v_mul_f64 v[15:16], v[17:18], v[13:14]
	v_mul_f64 v[21:22], v[11:12], v[15:16]
	v_fma_f64 v[11:12], v[15:16], v[11:12], -v[21:22]
	v_fma_f64 v[9:10], v[15:16], v[9:10], v[11:12]
	v_add_f64 v[11:12], v[21:22], v[9:10]
	v_add_f64 v[19:20], v[17:18], -v[11:12]
	v_add_f64 v[21:22], v[11:12], -v[21:22]
	;; [unrolled: 1-line block ×5, first 2 shown]
	v_mov_b32_e32 v17, 0x6b47b09a
	v_mov_b32_e32 v18, 0x3fc38538
	v_add_f64 v[9:10], v[9:10], v[11:12]
	v_add_f64 v[9:10], v[19:20], v[9:10]
	v_mul_f64 v[9:10], v[13:14], v[9:10]
	v_add_f64 v[11:12], v[15:16], v[9:10]
	v_mul_f64 v[13:14], v[11:12], v[11:12]
	v_fma_f64 v[17:18], v[13:14], s[8:9], v[17:18]
	s_mov_b32 s8, 0xe896898f
	s_mov_b32 s9, 0x40ce7437
	v_add_f64 v[19:20], v[7:8], s[8:9]
	s_mov_b32 s8, 0x9b27acf1
	s_mov_b32 s9, 0x3fd24924
	v_mul_f64 v[21:22], v[11:12], v[13:14]
	v_fma_f64 v[17:18], v[13:14], v[17:18], s[12:13]
	s_mov_b32 s12, 0xf0284cdd
	s_mov_b32 s13, 0x41f43f78
	v_fma_f64 v[19:20], v[3:4], v[19:20], s[10:11]
	s_mov_b32 s10, 0x5164d101
	s_mov_b32 s11, 0x41b00763
	;; [unrolled: 3-line block ×3, first 2 shown]
	v_fma_f64 v[19:20], v[3:4], v[19:20], s[12:13]
	v_fma_f64 v[17:18], v[13:14], v[17:18], s[8:9]
	s_mov_b32 s8, 0x576dfcb6
	s_mov_b32 s9, 0x40904522
	v_add_f64 v[7:8], v[7:8], s[8:9]
	s_mov_b32 s8, 0x998ef7b6
	s_mov_b32 s9, 0x3fd99999
	v_fma_f64 v[17:18], v[13:14], v[17:18], s[8:9]
	s_mov_b32 s8, 0xa907bc0c
	s_mov_b32 s9, 0x41231b76
	v_fma_f64 v[7:8], v[3:4], v[7:8], s[8:9]
	;; [unrolled: 3-line block ×3, first 2 shown]
	v_fma_f64 v[17:18], v[3:4], v[19:20], s[14:15]
	v_ldexp_f64 v[19:20], v[11:12], 1
	v_fma_f64 v[7:8], v[3:4], v[7:8], s[10:11]
	s_mov_b32 s6, 0x2b8664bc
	s_mov_b32 s7, 0x42341ddb
	v_add_f64 v[11:12], v[11:12], -v[15:16]
	s_mov_b32 s10, 0xdfeb596d
	v_mul_f64 v[13:14], v[21:22], v[13:14]
	v_frexp_exp_i32_f64_e32 v21, v[1:2]
	s_mov_b32 s11, 0x43268910
	v_fma_f64 v[1:2], v[3:4], v[7:8], s[6:7]
	v_fma_f64 v[7:8], v[3:4], v[17:18], s[18:19]
	s_mov_b32 s6, 0xfefa39ef
	s_mov_b32 s7, 0x3fe62e42
	v_add_f64 v[9:10], v[9:10], -v[11:12]
	v_add_f64 v[15:16], v[19:20], v[13:14]
	v_subbrev_co_u32_e32 v17, vcc, 0, v21, vcc
	v_cvt_f64_i32_e32 v[17:18], v17
	v_fma_f64 v[1:2], v[3:4], v[1:2], s[8:9]
	v_fma_f64 v[7:8], v[3:4], v[7:8], s[20:21]
	s_mov_b32 s8, 0xbcf9b5d0
	v_mul_f64 v[21:22], v[17:18], s[6:7]
	v_add_f64 v[11:12], v[15:16], -v[19:20]
	v_ldexp_f64 v[9:10], v[9:10], 1
	s_mov_b32 s9, 0x438bd25f
	v_fma_f64 v[1:2], v[3:4], v[1:2], s[10:11]
	v_fma_f64 v[7:8], v[3:4], v[7:8], s[22:23]
	v_fma_f64 v[19:20], v[17:18], s[6:7], -v[21:22]
	v_add_f64 v[11:12], v[13:14], -v[11:12]
	s_mov_b32 s6, 0x5906367b
	s_mov_b32 s7, 0xc3506d4b
	v_fma_f64 v[1:2], v[3:4], v[1:2], s[8:9]
	v_fma_f64 v[3:4], v[3:4], v[7:8], s[6:7]
	s_mov_b32 s6, 0x3b39803f
	s_mov_b32 s7, 0x3c7abc9e
	v_fma_f64 v[7:8], v[17:18], s[6:7], v[19:20]
	v_add_f64 v[9:10], v[9:10], v[11:12]
	v_div_scale_f64 v[11:12], s[6:7], v[1:2], v[1:2], v[3:4]
	s_mov_b32 s6, 0x6dc9c883
	v_add_f64 v[13:14], v[21:22], v[7:8]
	v_add_f64 v[17:18], v[15:16], v[9:10]
	s_mov_b32 s7, 0x3fe45f30
	v_add_f64 v[21:22], v[13:14], -v[21:22]
	v_add_f64 v[19:20], v[13:14], v[17:18]
	v_add_f64 v[15:16], v[17:18], -v[15:16]
	v_rcp_f64_e32 v[23:24], v[11:12]
	v_add_f64 v[7:8], v[7:8], -v[21:22]
	v_add_f64 v[25:26], v[19:20], -v[13:14]
	;; [unrolled: 1-line block ×5, first 2 shown]
	v_add_f64 v[21:22], v[7:8], v[9:10]
	v_fma_f64 v[29:30], -v[11:12], v[23:24], 1.0
	v_add_f64 v[13:14], v[13:14], -v[27:28]
	v_add_f64 v[25:26], v[21:22], -v[7:8]
	v_fma_f64 v[17:18], v[23:24], v[29:30], v[23:24]
	v_div_scale_f64 v[23:24], vcc, v[3:4], v[1:2], v[3:4]
	v_add_f64 v[13:14], v[15:16], v[13:14]
	v_add_f64 v[9:10], v[9:10], -v[25:26]
	v_fma_f64 v[15:16], -v[11:12], v[17:18], 1.0
	v_add_f64 v[13:14], v[21:22], v[13:14]
	v_fma_f64 v[15:16], v[17:18], v[15:16], v[17:18]
	v_add_f64 v[17:18], v[21:22], -v[25:26]
	v_add_f64 v[21:22], v[19:20], v[13:14]
	v_mul_f64 v[27:28], v[23:24], v[15:16]
	v_add_f64 v[7:8], v[7:8], -v[17:18]
	v_add_f64 v[17:18], v[21:22], -v[19:20]
	v_fma_f64 v[11:12], -v[11:12], v[27:28], v[23:24]
	v_add_f64 v[7:8], v[9:10], v[7:8]
	v_add_f64 v[9:10], v[13:14], -v[17:18]
	v_div_fmas_f64 v[11:12], v[11:12], v[15:16], v[27:28]
	v_add_f64 v[7:8], v[7:8], v[9:10]
	v_add_f64 v[7:8], v[21:22], v[7:8]
	v_div_fixup_f64 v[1:2], v[11:12], v[1:2], v[3:4]
	v_mul_f64 v[3:4], v[7:8], s[6:7]
	v_fma_f64 v[3:4], v[3:4], v[5:6], v[1:2]
.LBB7_272:
	s_or_b64 exec, exec, s[4:5]
.LBB7_273:
	s_or_b64 exec, exec, s[2:3]
                                        ; implicit-def: $vgpr1_vgpr2
.LBB7_274:
	s_andn2_saveexec_b64 s[6:7], s[0:1]
	s_cbranch_execz .LBB7_284
; %bb.275:
	s_mov_b32 s5, 0xbfe921fb
	s_mov_b32 s4, 0x54442d18
	v_add_f64 v[3:4], v[1:2], s[4:5]
	s_mov_b32 s0, 0
	s_mov_b32 s1, 0x41d00000
                                        ; implicit-def: $vgpr27
                                        ; implicit-def: $vgpr5_vgpr6
                                        ; implicit-def: $vgpr7_vgpr8
	v_cmp_nlt_f64_e64 s[2:3], |v[3:4]|, s[0:1]
	s_and_saveexec_b64 s[0:1], s[2:3]
	s_xor_b64 s[8:9], exec, s[0:1]
	s_cbranch_execz .LBB7_277
; %bb.276:
	v_trig_preop_f64 v[5:6], |v[3:4]|, 0
	s_mov_b32 s0, 0
	s_mov_b32 s1, 0x7b000000
	s_movk_i32 s5, 0xff80
	v_ldexp_f64 v[9:10], |v[3:4]|, s5
	v_cmp_ge_f64_e64 vcc, |v[3:4]|, s[0:1]
	v_trig_preop_f64 v[7:8], |v[3:4]|, 1
	v_and_b32_e32 v11, 0x7fffffff, v4
	v_trig_preop_f64 v[17:18], |v[3:4]|, 2
	s_mov_b32 s0, 0
	s_mov_b32 s1, 0x7ff00000
	v_mov_b32_e32 v27, 0x40100000
	v_mov_b32_e32 v28, 0
	v_cndmask_b32_e32 v10, v11, v10, vcc
	v_cndmask_b32_e32 v9, v3, v9, vcc
	s_mov_b32 s5, 0x3ff921fb
	v_mul_f64 v[11:12], v[5:6], v[9:10]
	v_mul_f64 v[13:14], v[7:8], v[9:10]
	;; [unrolled: 1-line block ×3, first 2 shown]
	v_fma_f64 v[5:6], v[5:6], v[9:10], -v[11:12]
	v_fma_f64 v[7:8], v[7:8], v[9:10], -v[13:14]
	v_fma_f64 v[9:10], v[17:18], v[9:10], -v[23:24]
	v_add_f64 v[15:16], v[13:14], v[5:6]
	v_add_f64 v[19:20], v[15:16], -v[13:14]
	v_add_f64 v[25:26], v[11:12], v[15:16]
	v_add_f64 v[21:22], v[15:16], -v[19:20]
	v_add_f64 v[5:6], v[5:6], -v[19:20]
	v_add_f64 v[19:20], v[23:24], v[7:8]
	v_add_f64 v[11:12], v[25:26], -v[11:12]
	v_add_f64 v[13:14], v[13:14], -v[21:22]
	v_ldexp_f64 v[21:22], v[25:26], -2
	v_add_f64 v[30:31], v[19:20], -v[23:24]
	v_add_f64 v[11:12], v[15:16], -v[11:12]
	v_add_f64 v[5:6], v[5:6], v[13:14]
	v_fract_f64_e32 v[13:14], v[21:22]
	v_cmp_neq_f64_e64 vcc, |v[21:22]|, s[0:1]
	v_add_f64 v[7:8], v[7:8], -v[30:31]
	v_add_f64 v[15:16], v[19:20], v[5:6]
	v_ldexp_f64 v[13:14], v[13:14], 2
	v_add_f64 v[21:22], v[11:12], v[15:16]
	v_cndmask_b32_e32 v14, 0, v14, vcc
	v_cndmask_b32_e32 v13, 0, v13, vcc
	v_add_f64 v[32:33], v[15:16], -v[19:20]
	v_add_f64 v[25:26], v[21:22], v[13:14]
	v_add_f64 v[11:12], v[21:22], -v[11:12]
	v_add_f64 v[34:35], v[15:16], -v[32:33]
	;; [unrolled: 1-line block ×3, first 2 shown]
	v_cmp_gt_f64_e32 vcc, 0, v[25:26]
	v_add_f64 v[25:26], v[19:20], -v[30:31]
	v_add_f64 v[11:12], v[15:16], -v[11:12]
	;; [unrolled: 1-line block ×3, first 2 shown]
	v_cndmask_b32_e32 v29, 0, v27, vcc
	v_add_f64 v[13:14], v[13:14], v[28:29]
	v_add_f64 v[25:26], v[23:24], -v[25:26]
	v_add_f64 v[5:6], v[5:6], v[19:20]
	v_add_f64 v[36:37], v[21:22], v[13:14]
	;; [unrolled: 1-line block ×3, first 2 shown]
	v_cvt_i32_f64_e32 v27, v[36:37]
	v_add_f64 v[5:6], v[7:8], v[5:6]
	v_cvt_f64_i32_e32 v[29:30], v27
	v_add_f64 v[13:14], v[13:14], -v[29:30]
	v_add_f64 v[5:6], v[9:10], v[5:6]
	v_add_f64 v[7:8], v[21:22], v[13:14]
	v_add_f64 v[5:6], v[11:12], v[5:6]
	v_mov_b32_e32 v11, 0x3ff00000
	v_add_f64 v[9:10], v[7:8], -v[13:14]
	v_cmp_le_f64_e32 vcc, 0.5, v[7:8]
	v_add_f64 v[9:10], v[21:22], -v[9:10]
	v_cndmask_b32_e32 v29, 0, v11, vcc
	v_add_f64 v[7:8], v[7:8], -v[28:29]
	v_addc_co_u32_e64 v27, s[0:1], 0, v27, vcc
	s_mov_b32 s0, 0x33145c07
	s_mov_b32 s1, 0x3c91a626
	v_add_f64 v[5:6], v[5:6], v[9:10]
	v_add_f64 v[9:10], v[7:8], v[5:6]
	v_mul_f64 v[11:12], v[9:10], s[4:5]
	v_add_f64 v[7:8], v[9:10], -v[7:8]
	v_fma_f64 v[13:14], v[9:10], s[4:5], -v[11:12]
	v_add_f64 v[5:6], v[5:6], -v[7:8]
	v_fma_f64 v[7:8], v[9:10], s[0:1], v[13:14]
	v_fma_f64 v[7:8], v[5:6], s[4:5], v[7:8]
	v_add_f64 v[5:6], v[11:12], v[7:8]
	v_add_f64 v[9:10], v[5:6], -v[11:12]
	v_add_f64 v[7:8], v[7:8], -v[9:10]
	s_andn2_saveexec_b64 s[0:1], s[8:9]
	s_cbranch_execz .LBB7_279
	s_branch .LBB7_278
.LBB7_277:
	s_andn2_saveexec_b64 s[0:1], s[8:9]
	s_cbranch_execz .LBB7_279
.LBB7_278:
	s_mov_b32 s4, 0x6dc9c883
	s_mov_b32 s5, 0x3fe45f30
	v_mul_f64 v[5:6], |v[3:4]|, s[4:5]
	s_mov_b32 s4, 0x54442d18
	s_mov_b32 s5, 0xbff921fb
	s_mov_b32 s9, 0xbc91a626
	s_mov_b32 s8, 0x33145c00
	v_rndne_f64_e32 v[9:10], v[5:6]
	v_fma_f64 v[5:6], v[9:10], s[4:5], |v[3:4]|
	v_mul_f64 v[7:8], v[9:10], s[8:9]
	s_mov_b32 s4, 0x252049c0
	s_mov_b32 s5, 0xb97b839a
	v_cvt_i32_f64_e32 v27, v[9:10]
	v_fma_f64 v[15:16], v[9:10], s[8:9], v[5:6]
	v_add_f64 v[11:12], v[5:6], v[7:8]
	s_mov_b32 s9, 0x3c91a626
	v_add_f64 v[13:14], v[5:6], -v[11:12]
	v_add_f64 v[11:12], v[11:12], -v[15:16]
	v_add_f64 v[5:6], v[13:14], v[7:8]
	v_fma_f64 v[7:8], v[9:10], s[8:9], v[7:8]
	v_add_f64 v[5:6], v[11:12], v[5:6]
	v_add_f64 v[5:6], v[5:6], -v[7:8]
	v_fma_f64 v[7:8], v[9:10], s[4:5], v[5:6]
	v_add_f64 v[5:6], v[15:16], v[7:8]
	v_add_f64 v[11:12], v[5:6], -v[15:16]
	v_add_f64 v[7:8], v[7:8], -v[11:12]
.LBB7_279:
	s_or_b64 exec, exec, s[0:1]
                                        ; implicit-def: $vgpr28
                                        ; implicit-def: $vgpr9_vgpr10
                                        ; implicit-def: $vgpr11_vgpr12
	s_and_saveexec_b64 s[0:1], s[2:3]
	s_xor_b64 s[2:3], exec, s[0:1]
	s_cbranch_execz .LBB7_281
; %bb.280:
	v_trig_preop_f64 v[9:10], |v[3:4]|, 0
	s_mov_b32 s0, 0
	s_mov_b32 s1, 0x7b000000
	s_movk_i32 s4, 0xff80
	v_ldexp_f64 v[13:14], |v[3:4]|, s4
	v_cmp_ge_f64_e64 vcc, |v[3:4]|, s[0:1]
	v_trig_preop_f64 v[11:12], |v[3:4]|, 1
	v_and_b32_e32 v15, 0x7fffffff, v4
	v_trig_preop_f64 v[21:22], |v[3:4]|, 2
	s_mov_b32 s0, 0
	s_mov_b32 s1, 0x7ff00000
	v_mov_b32_e32 v33, 0x40100000
	v_mov_b32_e32 v32, 0
	v_cndmask_b32_e32 v14, v15, v14, vcc
	v_cndmask_b32_e32 v13, v3, v13, vcc
	s_mov_b32 s4, 0x33145c07
	v_mul_f64 v[15:16], v[9:10], v[13:14]
	s_mov_b32 s5, 0x3c91a626
	v_mul_f64 v[17:18], v[11:12], v[13:14]
	v_mul_f64 v[28:29], v[21:22], v[13:14]
	v_fma_f64 v[9:10], v[9:10], v[13:14], -v[15:16]
	v_fma_f64 v[11:12], v[11:12], v[13:14], -v[17:18]
	;; [unrolled: 1-line block ×3, first 2 shown]
	v_add_f64 v[19:20], v[17:18], v[9:10]
	v_add_f64 v[23:24], v[19:20], -v[17:18]
	v_add_f64 v[30:31], v[15:16], v[19:20]
	v_add_f64 v[25:26], v[19:20], -v[23:24]
	v_add_f64 v[9:10], v[9:10], -v[23:24]
	v_add_f64 v[23:24], v[28:29], v[11:12]
	v_add_f64 v[15:16], v[30:31], -v[15:16]
	v_add_f64 v[17:18], v[17:18], -v[25:26]
	v_ldexp_f64 v[25:26], v[30:31], -2
	v_add_f64 v[34:35], v[23:24], -v[28:29]
	v_add_f64 v[15:16], v[19:20], -v[15:16]
	v_add_f64 v[9:10], v[9:10], v[17:18]
	v_fract_f64_e32 v[17:18], v[25:26]
	v_cmp_neq_f64_e64 vcc, |v[25:26]|, s[0:1]
	v_add_f64 v[11:12], v[11:12], -v[34:35]
	v_add_f64 v[19:20], v[23:24], v[9:10]
	v_ldexp_f64 v[17:18], v[17:18], 2
	v_add_f64 v[25:26], v[15:16], v[19:20]
	v_cndmask_b32_e32 v18, 0, v18, vcc
	v_cndmask_b32_e32 v17, 0, v17, vcc
	v_add_f64 v[36:37], v[19:20], -v[23:24]
	v_add_f64 v[30:31], v[25:26], v[17:18]
	v_add_f64 v[15:16], v[25:26], -v[15:16]
	v_add_f64 v[38:39], v[19:20], -v[36:37]
	v_add_f64 v[9:10], v[9:10], -v[36:37]
	v_cmp_gt_f64_e32 vcc, 0, v[30:31]
	v_add_f64 v[30:31], v[23:24], -v[34:35]
	v_add_f64 v[15:16], v[19:20], -v[15:16]
	;; [unrolled: 1-line block ×3, first 2 shown]
	v_cndmask_b32_e32 v33, 0, v33, vcc
	v_add_f64 v[17:18], v[17:18], v[32:33]
	v_add_f64 v[30:31], v[28:29], -v[30:31]
	v_add_f64 v[9:10], v[9:10], v[23:24]
	v_add_f64 v[40:41], v[25:26], v[17:18]
	;; [unrolled: 1-line block ×3, first 2 shown]
	v_cvt_i32_f64_e32 v35, v[40:41]
	v_add_f64 v[9:10], v[11:12], v[9:10]
	v_cvt_f64_i32_e32 v[33:34], v35
	v_add_f64 v[17:18], v[17:18], -v[33:34]
	v_add_f64 v[9:10], v[13:14], v[9:10]
	v_add_f64 v[11:12], v[25:26], v[17:18]
	;; [unrolled: 1-line block ×3, first 2 shown]
	v_mov_b32_e32 v15, 0x3ff00000
	v_add_f64 v[13:14], v[11:12], -v[17:18]
	v_cmp_le_f64_e32 vcc, 0.5, v[11:12]
	v_add_f64 v[13:14], v[25:26], -v[13:14]
	v_cndmask_b32_e32 v33, 0, v15, vcc
	v_add_f64 v[11:12], v[11:12], -v[32:33]
	v_addc_co_u32_e64 v28, s[0:1], 0, v35, vcc
	s_mov_b32 s0, 0x54442d18
	s_mov_b32 s1, 0x3ff921fb
	v_add_f64 v[9:10], v[9:10], v[13:14]
	v_add_f64 v[13:14], v[11:12], v[9:10]
	v_mul_f64 v[15:16], v[13:14], s[0:1]
	v_add_f64 v[11:12], v[13:14], -v[11:12]
	v_fma_f64 v[17:18], v[13:14], s[0:1], -v[15:16]
	v_add_f64 v[9:10], v[9:10], -v[11:12]
	v_fma_f64 v[11:12], v[13:14], s[4:5], v[17:18]
	v_fma_f64 v[11:12], v[9:10], s[0:1], v[11:12]
	v_add_f64 v[9:10], v[15:16], v[11:12]
	v_add_f64 v[13:14], v[9:10], -v[15:16]
	v_add_f64 v[11:12], v[11:12], -v[13:14]
	s_andn2_saveexec_b64 s[0:1], s[2:3]
	s_cbranch_execnz .LBB7_282
	s_branch .LBB7_283
.LBB7_281:
	s_andn2_saveexec_b64 s[0:1], s[2:3]
	s_cbranch_execz .LBB7_283
.LBB7_282:
	s_mov_b32 s2, 0x6dc9c883
	s_mov_b32 s3, 0x3fe45f30
	v_mul_f64 v[9:10], |v[3:4]|, s[2:3]
	s_mov_b32 s2, 0x54442d18
	s_mov_b32 s3, 0xbff921fb
	;; [unrolled: 1-line block ×4, first 2 shown]
	v_rndne_f64_e32 v[13:14], v[9:10]
	v_fma_f64 v[9:10], v[13:14], s[2:3], |v[3:4]|
	v_mul_f64 v[11:12], v[13:14], s[4:5]
	s_mov_b32 s2, 0x252049c0
	s_mov_b32 s3, 0xb97b839a
	v_cvt_i32_f64_e32 v28, v[13:14]
	v_fma_f64 v[19:20], v[13:14], s[4:5], v[9:10]
	v_add_f64 v[15:16], v[9:10], v[11:12]
	s_mov_b32 s5, 0x3c91a626
	v_add_f64 v[17:18], v[9:10], -v[15:16]
	v_add_f64 v[15:16], v[15:16], -v[19:20]
	v_add_f64 v[9:10], v[17:18], v[11:12]
	v_fma_f64 v[11:12], v[13:14], s[4:5], v[11:12]
	v_add_f64 v[9:10], v[15:16], v[9:10]
	v_add_f64 v[9:10], v[9:10], -v[11:12]
	v_fma_f64 v[11:12], v[13:14], s[2:3], v[9:10]
	v_add_f64 v[9:10], v[19:20], v[11:12]
	v_add_f64 v[15:16], v[9:10], -v[19:20]
	v_add_f64 v[11:12], v[11:12], -v[15:16]
.LBB7_283:
	s_or_b64 exec, exec, s[0:1]
	v_mul_f64 v[13:14], v[1:2], v[1:2]
	s_mov_b32 s10, 0
	s_mov_b32 s11, 0x40390000
	;; [unrolled: 1-line block ×7, first 2 shown]
	v_div_scale_f64 v[15:16], s[0:1], v[13:14], v[13:14], s[10:11]
	s_mov_b32 s18, 0xc9b3069f
	s_mov_b32 s9, 0x3ff3d521
	;; [unrolled: 1-line block ×14, first 2 shown]
	v_rcp_f64_e32 v[17:18], v[15:16]
	s_brev_b32 s29, 8
	s_mov_b32 s26, 0xb42fdfa7
	s_mov_b32 s27, 0xbe5ae600
	v_mov_b32_e32 v54, s27
	v_mov_b32_e32 v53, s26
	;; [unrolled: 1-line block ×3, first 2 shown]
	s_mov_b32 s24, 0x19e83e5c
	s_mov_b32 s25, 0xbf2a01a0
	v_and_b32_e32 v61, 1, v27
	v_fma_f64 v[19:20], -v[15:16], v[17:18], 1.0
	v_fma_f64 v[17:18], v[17:18], v[19:20], v[17:18]
	v_div_scale_f64 v[19:20], vcc, s[10:11], v[13:14], s[10:11]
	v_fma_f64 v[21:22], -v[15:16], v[17:18], 1.0
	v_fma_f64 v[17:18], v[17:18], v[21:22], v[17:18]
	v_mul_f64 v[21:22], v[19:20], v[17:18]
	v_fma_f64 v[15:16], -v[15:16], v[21:22], v[19:20]
	v_div_fmas_f64 v[15:16], v[15:16], v[17:18], v[21:22]
	v_mov_b32_e32 v17, 0x983b6b27
	v_mov_b32_e32 v18, 0x3f4a1d30
	;; [unrolled: 1-line block ×4, first 2 shown]
	v_div_fixup_f64 v[19:20], v[15:16], v[13:14], s[10:11]
	s_mov_b32 s10, 0xea1b21a1
	s_mov_b32 s11, 0x40218618
	v_fma_f64 v[13:14], v[19:20], 0, v[21:22]
	v_fma_f64 v[15:16], v[19:20], 0, v[17:18]
	v_mov_b32_e32 v17, 0x38a5384a
	v_mov_b32_e32 v18, 0xbf874742
	v_fma_f64 v[17:18], v[19:20], 0, v[17:18]
	v_mov_b32_e32 v21, 0x413c25ac
	v_mov_b32_e32 v22, 0x40501457
	v_fma_f64 v[21:22], v[19:20], 0, v[21:22]
	v_fma_f64 v[13:14], v[19:20], v[13:14], s[14:15]
	v_fma_f64 v[15:16], v[19:20], v[15:16], s[12:13]
	s_mov_b32 s12, 0x3a321174
	s_mov_b32 s13, 0xbff4853b
	v_fma_f64 v[17:18], v[19:20], v[17:18], s[12:13]
	s_mov_b32 s12, 0xb1759c7f
	s_mov_b32 s13, 0x408ac370
	v_fma_f64 v[21:22], v[19:20], v[21:22], s[12:13]
	v_fma_f64 v[13:14], v[19:20], v[13:14], s[18:19]
	v_fma_f64 v[15:16], v[19:20], v[15:16], s[8:9]
	s_mov_b32 s8, 0xf50e2c0c
	s_mov_b32 s9, 0xc0338dcf
	v_fma_f64 v[17:18], v[19:20], v[17:18], s[8:9]
	s_mov_b32 s8, 0xbd748cb5
	s_mov_b32 s9, 0x40ae54cd
	;; [unrolled: 8-line block ×5, first 2 shown]
	s_mov_b32 s1, 0xc049b48c
	v_fma_f64 v[13:14], v[19:20], v[13:14], 1.0
	v_fma_f64 v[15:16], v[19:20], v[15:16], 1.0
	s_mov_b32 s3, 0x40a01c2f
	v_fma_f64 v[23:24], v[19:20], v[21:22], s[2:3]
	v_fma_f64 v[25:26], v[19:20], v[17:18], s[0:1]
	s_mov_b32 s2, 0x6280a54
	s_mov_b32 s8, 0
	;; [unrolled: 1-line block ×4, first 2 shown]
	v_div_scale_f64 v[21:22], s[0:1], v[13:14], v[13:14], v[15:16]
	s_mov_b32 s0, 0xd1b9a1dd
	s_mov_b32 s1, 0xc0183358
	v_fma_f64 v[17:18], v[19:20], v[23:24], s[2:3]
	v_fma_f64 v[19:20], v[19:20], v[25:26], s[0:1]
	v_div_scale_f64 v[25:26], s[0:1], v[1:2], v[1:2], s[8:9]
	v_div_scale_f64 v[39:40], vcc, v[15:16], v[13:14], v[15:16]
	v_mul_f64 v[23:24], v[5:6], v[5:6]
	s_mov_b32 s20, 0xf9a43bb8
	s_mov_b32 s21, 0x3de5e0b2
	v_div_scale_f64 v[29:30], s[0:1], v[17:18], v[17:18], v[19:20]
	v_div_scale_f64 v[47:48], s[4:5], v[19:20], v[17:18], v[19:20]
	v_rcp_f64_e32 v[31:32], v[21:22]
	s_mov_b32 s0, 0x9037ab78
	s_mov_b32 s1, 0x3e21eeb6
	v_fma_f64 v[57:58], v[23:24], s[20:21], v[53:54]
	s_mov_b32 s18, 0x46cc5e42
	v_rcp_f64_e32 v[33:34], v[25:26]
	s_mov_b32 s22, 0x796cde01
	s_mov_b32 s19, 0xbda907db
	;; [unrolled: 1-line block ×6, first 2 shown]
	v_rcp_f64_e32 v[35:36], v[29:30]
	s_mov_b32 s15, 0x3f811111
	s_mov_b32 s10, 0x19f4ec90
	;; [unrolled: 1-line block ×3, first 2 shown]
	v_fma_f64 v[37:38], -v[21:22], v[31:32], 1.0
	v_fma_f64 v[31:32], v[31:32], v[37:38], v[31:32]
	v_fma_f64 v[37:38], -v[25:26], v[33:34], 1.0
	v_fma_f64 v[41:42], -v[29:30], v[35:36], 1.0
	v_fma_f64 v[43:44], -v[21:22], v[31:32], 1.0
	v_fma_f64 v[33:34], v[33:34], v[37:38], v[33:34]
	v_mul_f64 v[37:38], v[7:8], 0.5
	v_fma_f64 v[35:36], v[35:36], v[41:42], v[35:36]
	v_mul_f64 v[41:42], v[9:10], v[9:10]
	v_fma_f64 v[31:32], v[31:32], v[43:44], v[31:32]
	v_div_scale_f64 v[43:44], s[2:3], s[8:9], v[1:2], s[8:9]
	v_fma_f64 v[45:46], -v[25:26], v[33:34], 1.0
	v_fma_f64 v[49:50], -v[29:30], v[35:36], 1.0
	v_fma_f64 v[53:54], v[41:42], s[20:21], v[53:54]
	v_mul_f64 v[51:52], v[39:40], v[31:32]
	v_fma_f64 v[33:34], v[33:34], v[45:46], v[33:34]
	v_mov_b32_e32 v46, s1
	v_mov_b32_e32 v45, s0
	v_fma_f64 v[35:36], v[35:36], v[49:50], v[35:36]
	v_cmp_gt_f64_e64 s[0:1], s[28:29], v[1:2]
	v_fma_f64 v[21:22], -v[21:22], v[51:52], v[39:40]
	v_mul_f64 v[49:50], v[43:44], v[33:34]
	v_mul_f64 v[59:60], v[47:48], v[35:36]
	v_cndmask_b32_e64 v39, 0, v55, s[0:1]
	v_mul_f64 v[55:56], v[23:24], 0.5
	v_div_fmas_f64 v[21:22], v[21:22], v[31:32], v[51:52]
	v_mul_f64 v[31:32], v[41:42], 0.5
	v_fma_f64 v[25:26], -v[25:26], v[49:50], v[43:44]
	v_ldexp_f64 v[39:40], v[1:2], v39
	v_fma_f64 v[51:52], v[23:24], s[18:19], v[45:46]
	v_fma_f64 v[43:44], v[41:42], s[18:19], v[45:46]
	;; [unrolled: 1-line block ×3, first 2 shown]
	s_mov_b64 vcc, s[2:3]
	v_add_f64 v[57:58], -v[55:56], 1.0
	v_fma_f64 v[29:30], -v[29:30], v[59:60], v[47:48]
	v_add_f64 v[47:48], -v[31:32], 1.0
	v_div_fmas_f64 v[25:26], v[25:26], v[33:34], v[49:50]
	v_fma_f64 v[49:50], v[41:42], v[53:54], s[22:23]
	v_rsq_f64_e32 v[33:34], v[39:40]
	v_fma_f64 v[45:46], v[23:24], v[45:46], s[24:25]
	s_mov_b64 vcc, s[4:5]
	v_add_f64 v[53:54], -v[57:58], 1.0
	v_div_fmas_f64 v[29:30], v[29:30], v[35:36], v[59:60]
	v_add_f64 v[35:36], -v[47:48], 1.0
	v_fma_f64 v[51:52], v[23:24], v[51:52], s[12:13]
	v_fma_f64 v[49:50], v[41:42], v[49:50], s[24:25]
	;; [unrolled: 1-line block ×3, first 2 shown]
	v_mul_f64 v[59:60], v[5:6], -v[23:24]
	v_fma_f64 v[45:46], v[23:24], v[45:46], s[14:15]
	v_add_f64 v[53:54], v[53:54], -v[55:56]
	v_mul_f64 v[55:56], v[11:12], 0.5
	v_add_f64 v[31:32], v[35:36], -v[31:32]
	v_mul_f64 v[35:36], v[9:10], -v[41:42]
	v_fma_f64 v[49:50], v[41:42], v[49:50], s[14:15]
	v_fma_f64 v[51:52], v[23:24], v[51:52], s[10:11]
	;; [unrolled: 1-line block ×4, first 2 shown]
	v_mul_f64 v[45:46], v[39:40], v[33:34]
	v_mul_f64 v[33:34], v[33:34], 0.5
	s_mov_b32 s2, 0x16c16967
	s_mov_b32 s3, 0xbf56c16c
	v_fma_f64 v[49:50], v[35:36], v[49:50], v[55:56]
	v_fma_f64 v[51:52], v[23:24], v[51:52], s[2:3]
	;; [unrolled: 1-line block ×3, first 2 shown]
	v_fma_f64 v[53:54], v[5:6], -v[7:8], v[53:54]
	v_fma_f64 v[7:8], v[23:24], v[37:38], -v[7:8]
	v_fma_f64 v[55:56], -v[33:34], v[45:46], 0.5
	s_mov_b32 s4, 0x55555555
	s_mov_b32 s5, 0x3fa55555
	v_fma_f64 v[49:50], v[41:42], v[49:50], -v[11:12]
	v_fma_f64 v[37:38], v[23:24], v[51:52], s[4:5]
	v_mul_f64 v[23:24], v[23:24], v[23:24]
	v_fma_f64 v[43:44], v[41:42], v[43:44], s[4:5]
	v_mul_f64 v[41:42], v[41:42], v[41:42]
	v_fma_f64 v[11:12], v[9:10], -v[11:12], v[31:32]
	s_mov_b32 s11, 0xbfc55555
	v_fma_f64 v[45:46], v[45:46], v[55:56], v[45:46]
	s_mov_b32 s10, s4
	v_fma_f64 v[7:8], v[59:60], s[10:11], v[7:8]
	v_fma_f64 v[35:36], v[35:36], s[10:11], v[49:50]
	;; [unrolled: 1-line block ×5, first 2 shown]
	v_div_fixup_f64 v[1:2], v[25:26], v[1:2], s[8:9]
	v_fma_f64 v[33:34], -v[45:46], v[45:46], v[39:40]
	s_movk_i32 s2, 0x1f8
	v_add_f64 v[5:6], v[5:6], -v[7:8]
	v_add_f64 v[7:8], v[9:10], -v[35:36]
	v_div_fixup_f64 v[9:10], v[29:30], v[17:18], v[19:20]
	v_add_f64 v[23:24], v[57:58], v[23:24]
	v_add_f64 v[11:12], v[47:48], v[11:12]
	v_cmp_class_f64_e64 s[2:3], v[3:4], s2
	v_fma_f64 v[33:34], v[33:34], v[31:32], v[45:46]
	v_and_b32_e32 v38, 1, v28
	v_cmp_eq_u32_e32 vcc, 0, v61
	v_lshlrev_b32_e32 v28, 30, v28
	v_mul_f64 v[1:2], v[1:2], v[9:10]
	v_cndmask_b32_e32 v5, v23, v5, vcc
	v_xor_b32_e32 v8, 0x80000000, v8
	v_cmp_eq_u32_e64 s[4:5], 0, v38
	v_and_b32_e32 v19, 0x80000000, v28
	v_cndmask_b32_e64 v3, 0, v5, s[2:3]
	v_cndmask_b32_e64 v5, v8, v12, s[4:5]
	v_mov_b32_e32 v37, 0x7ff80000
	v_cndmask_b32_e64 v7, v7, v11, s[4:5]
	v_xor_b32_e32 v5, v5, v19
	v_fma_f64 v[17:18], -v[33:34], v[33:34], v[39:40]
	v_cndmask_b32_e64 v7, 0, v7, s[2:3]
	v_cndmask_b32_e64 v8, v37, v5, s[2:3]
	v_div_fixup_f64 v[9:10], v[21:22], v[13:14], v[15:16]
	v_mul_f64 v[1:2], v[1:2], v[7:8]
	v_lshlrev_b32_e32 v5, 30, v27
	v_xor_b32_e32 v4, v5, v4
	v_and_b32_e32 v4, 0x80000000, v4
	v_cndmask_b32_e32 v7, v24, v6, vcc
	v_xor_b32_e32 v4, v7, v4
	v_fma_f64 v[5:6], v[17:18], v[31:32], v[33:34]
	v_cndmask_b32_e64 v4, v37, v4, s[2:3]
	v_fma_f64 v[1:2], v[9:10], v[3:4], v[1:2]
	v_mov_b32_e32 v3, 0xffffff80
	s_mov_b32 s2, 0x33d43651
	v_mov_b32_e32 v7, 0x260
	v_cndmask_b32_e64 v3, 0, v3, s[0:1]
	s_mov_b32 s3, 0x3fe98845
	v_ldexp_f64 v[3:4], v[5:6], v3
	v_cmp_class_f64_e32 vcc, v[39:40], v7
	v_mul_f64 v[1:2], v[1:2], s[2:3]
	v_cndmask_b32_e32 v4, v4, v40, vcc
	v_cndmask_b32_e32 v3, v3, v39, vcc
	v_div_scale_f64 v[5:6], s[0:1], v[3:4], v[3:4], v[1:2]
	v_div_scale_f64 v[11:12], vcc, v[1:2], v[3:4], v[1:2]
	v_rcp_f64_e32 v[7:8], v[5:6]
	v_fma_f64 v[9:10], -v[5:6], v[7:8], 1.0
	v_fma_f64 v[7:8], v[7:8], v[9:10], v[7:8]
	v_fma_f64 v[9:10], -v[5:6], v[7:8], 1.0
	v_fma_f64 v[7:8], v[7:8], v[9:10], v[7:8]
	v_mul_f64 v[9:10], v[11:12], v[7:8]
	v_fma_f64 v[5:6], -v[5:6], v[9:10], v[11:12]
	v_div_fmas_f64 v[5:6], v[5:6], v[7:8], v[9:10]
	v_div_fixup_f64 v[3:4], v[5:6], v[3:4], v[1:2]
.LBB7_284:
	s_or_b64 exec, exec, s[6:7]
	global_store_dwordx2 v0, v[3:4], s[16:17]
	s_or_b64 exec, exec, s[48:49]
                                        ; implicit-def: $vgpr12
                                        ; implicit-def: $vgpr27
	s_andn2_saveexec_b64 s[0:1], s[38:39]
	s_cbranch_execz .LBB7_221
	s_branch .LBB7_8
	.section	.rodata,"a",@progbits
	.p2align	6, 0x0
	.amdhsa_kernel _ZN2at6native32elementwise_kernel_manual_unrollILi128ELi4EZNS0_22gpu_kernel_impl_nocastIZZZNS0_12_GLOBAL__N_121bessel_y0_kernel_cudaERNS_18TensorIteratorBaseEENKUlvE_clEvENKUlvE_clEvEUldE_EEvS5_RKT_EUlibE_EEviT1_
		.amdhsa_group_segment_fixed_size 0
		.amdhsa_private_segment_fixed_size 0
		.amdhsa_kernarg_size 360
		.amdhsa_user_sgpr_count 6
		.amdhsa_user_sgpr_private_segment_buffer 1
		.amdhsa_user_sgpr_dispatch_ptr 0
		.amdhsa_user_sgpr_queue_ptr 0
		.amdhsa_user_sgpr_kernarg_segment_ptr 1
		.amdhsa_user_sgpr_dispatch_id 0
		.amdhsa_user_sgpr_flat_scratch_init 0
		.amdhsa_user_sgpr_private_segment_size 0
		.amdhsa_uses_dynamic_stack 0
		.amdhsa_system_sgpr_private_segment_wavefront_offset 0
		.amdhsa_system_sgpr_workgroup_id_x 1
		.amdhsa_system_sgpr_workgroup_id_y 0
		.amdhsa_system_sgpr_workgroup_id_z 0
		.amdhsa_system_sgpr_workgroup_info 0
		.amdhsa_system_vgpr_workitem_id 0
		.amdhsa_next_free_vgpr 63
		.amdhsa_next_free_sgpr 62
		.amdhsa_reserve_vcc 1
		.amdhsa_reserve_flat_scratch 0
		.amdhsa_float_round_mode_32 0
		.amdhsa_float_round_mode_16_64 0
		.amdhsa_float_denorm_mode_32 3
		.amdhsa_float_denorm_mode_16_64 3
		.amdhsa_dx10_clamp 1
		.amdhsa_ieee_mode 1
		.amdhsa_fp16_overflow 0
		.amdhsa_exception_fp_ieee_invalid_op 0
		.amdhsa_exception_fp_denorm_src 0
		.amdhsa_exception_fp_ieee_div_zero 0
		.amdhsa_exception_fp_ieee_overflow 0
		.amdhsa_exception_fp_ieee_underflow 0
		.amdhsa_exception_fp_ieee_inexact 0
		.amdhsa_exception_int_div_zero 0
	.end_amdhsa_kernel
	.section	.text._ZN2at6native32elementwise_kernel_manual_unrollILi128ELi4EZNS0_22gpu_kernel_impl_nocastIZZZNS0_12_GLOBAL__N_121bessel_y0_kernel_cudaERNS_18TensorIteratorBaseEENKUlvE_clEvENKUlvE_clEvEUldE_EEvS5_RKT_EUlibE_EEviT1_,"axG",@progbits,_ZN2at6native32elementwise_kernel_manual_unrollILi128ELi4EZNS0_22gpu_kernel_impl_nocastIZZZNS0_12_GLOBAL__N_121bessel_y0_kernel_cudaERNS_18TensorIteratorBaseEENKUlvE_clEvENKUlvE_clEvEUldE_EEvS5_RKT_EUlibE_EEviT1_,comdat
.Lfunc_end7:
	.size	_ZN2at6native32elementwise_kernel_manual_unrollILi128ELi4EZNS0_22gpu_kernel_impl_nocastIZZZNS0_12_GLOBAL__N_121bessel_y0_kernel_cudaERNS_18TensorIteratorBaseEENKUlvE_clEvENKUlvE_clEvEUldE_EEvS5_RKT_EUlibE_EEviT1_, .Lfunc_end7-_ZN2at6native32elementwise_kernel_manual_unrollILi128ELi4EZNS0_22gpu_kernel_impl_nocastIZZZNS0_12_GLOBAL__N_121bessel_y0_kernel_cudaERNS_18TensorIteratorBaseEENKUlvE_clEvENKUlvE_clEvEUldE_EEvS5_RKT_EUlibE_EEviT1_
                                        ; -- End function
	.set _ZN2at6native32elementwise_kernel_manual_unrollILi128ELi4EZNS0_22gpu_kernel_impl_nocastIZZZNS0_12_GLOBAL__N_121bessel_y0_kernel_cudaERNS_18TensorIteratorBaseEENKUlvE_clEvENKUlvE_clEvEUldE_EEvS5_RKT_EUlibE_EEviT1_.num_vgpr, 63
	.set _ZN2at6native32elementwise_kernel_manual_unrollILi128ELi4EZNS0_22gpu_kernel_impl_nocastIZZZNS0_12_GLOBAL__N_121bessel_y0_kernel_cudaERNS_18TensorIteratorBaseEENKUlvE_clEvENKUlvE_clEvEUldE_EEvS5_RKT_EUlibE_EEviT1_.num_agpr, 0
	.set _ZN2at6native32elementwise_kernel_manual_unrollILi128ELi4EZNS0_22gpu_kernel_impl_nocastIZZZNS0_12_GLOBAL__N_121bessel_y0_kernel_cudaERNS_18TensorIteratorBaseEENKUlvE_clEvENKUlvE_clEvEUldE_EEvS5_RKT_EUlibE_EEviT1_.numbered_sgpr, 62
	.set _ZN2at6native32elementwise_kernel_manual_unrollILi128ELi4EZNS0_22gpu_kernel_impl_nocastIZZZNS0_12_GLOBAL__N_121bessel_y0_kernel_cudaERNS_18TensorIteratorBaseEENKUlvE_clEvENKUlvE_clEvEUldE_EEvS5_RKT_EUlibE_EEviT1_.num_named_barrier, 0
	.set _ZN2at6native32elementwise_kernel_manual_unrollILi128ELi4EZNS0_22gpu_kernel_impl_nocastIZZZNS0_12_GLOBAL__N_121bessel_y0_kernel_cudaERNS_18TensorIteratorBaseEENKUlvE_clEvENKUlvE_clEvEUldE_EEvS5_RKT_EUlibE_EEviT1_.private_seg_size, 0
	.set _ZN2at6native32elementwise_kernel_manual_unrollILi128ELi4EZNS0_22gpu_kernel_impl_nocastIZZZNS0_12_GLOBAL__N_121bessel_y0_kernel_cudaERNS_18TensorIteratorBaseEENKUlvE_clEvENKUlvE_clEvEUldE_EEvS5_RKT_EUlibE_EEviT1_.uses_vcc, 1
	.set _ZN2at6native32elementwise_kernel_manual_unrollILi128ELi4EZNS0_22gpu_kernel_impl_nocastIZZZNS0_12_GLOBAL__N_121bessel_y0_kernel_cudaERNS_18TensorIteratorBaseEENKUlvE_clEvENKUlvE_clEvEUldE_EEvS5_RKT_EUlibE_EEviT1_.uses_flat_scratch, 0
	.set _ZN2at6native32elementwise_kernel_manual_unrollILi128ELi4EZNS0_22gpu_kernel_impl_nocastIZZZNS0_12_GLOBAL__N_121bessel_y0_kernel_cudaERNS_18TensorIteratorBaseEENKUlvE_clEvENKUlvE_clEvEUldE_EEvS5_RKT_EUlibE_EEviT1_.has_dyn_sized_stack, 0
	.set _ZN2at6native32elementwise_kernel_manual_unrollILi128ELi4EZNS0_22gpu_kernel_impl_nocastIZZZNS0_12_GLOBAL__N_121bessel_y0_kernel_cudaERNS_18TensorIteratorBaseEENKUlvE_clEvENKUlvE_clEvEUldE_EEvS5_RKT_EUlibE_EEviT1_.has_recursion, 0
	.set _ZN2at6native32elementwise_kernel_manual_unrollILi128ELi4EZNS0_22gpu_kernel_impl_nocastIZZZNS0_12_GLOBAL__N_121bessel_y0_kernel_cudaERNS_18TensorIteratorBaseEENKUlvE_clEvENKUlvE_clEvEUldE_EEvS5_RKT_EUlibE_EEviT1_.has_indirect_call, 0
	.section	.AMDGPU.csdata,"",@progbits
; Kernel info:
; codeLenInByte = 50460
; TotalNumSgprs: 66
; NumVgprs: 63
; ScratchSize: 0
; MemoryBound: 0
; FloatMode: 240
; IeeeMode: 1
; LDSByteSize: 0 bytes/workgroup (compile time only)
; SGPRBlocks: 8
; VGPRBlocks: 15
; NumSGPRsForWavesPerEU: 66
; NumVGPRsForWavesPerEU: 63
; Occupancy: 4
; WaveLimiterHint : 1
; COMPUTE_PGM_RSRC2:SCRATCH_EN: 0
; COMPUTE_PGM_RSRC2:USER_SGPR: 6
; COMPUTE_PGM_RSRC2:TRAP_HANDLER: 0
; COMPUTE_PGM_RSRC2:TGID_X_EN: 1
; COMPUTE_PGM_RSRC2:TGID_Y_EN: 0
; COMPUTE_PGM_RSRC2:TGID_Z_EN: 0
; COMPUTE_PGM_RSRC2:TIDIG_COMP_CNT: 0
	.text
	.p2align	2                               ; -- Begin function _ZN2at6native6invokeIZZZNS0_12_GLOBAL__N_121bessel_y0_kernel_cudaERNS_18TensorIteratorBaseEENKUlvE_clEvENKUlvE_clEvEUldE_i15function_traitsIS7_EEENT1_11result_typeERKT_PrKPcPKT0_PKN3c1010ScalarTypeEi
	.type	_ZN2at6native6invokeIZZZNS0_12_GLOBAL__N_121bessel_y0_kernel_cudaERNS_18TensorIteratorBaseEENKUlvE_clEvENKUlvE_clEvEUldE_i15function_traitsIS7_EEENT1_11result_typeERKT_PrKPcPKT0_PKN3c1010ScalarTypeEi,@function
_ZN2at6native6invokeIZZZNS0_12_GLOBAL__N_121bessel_y0_kernel_cudaERNS_18TensorIteratorBaseEENKUlvE_clEvENKUlvE_clEvEUldE_i15function_traitsIS7_EEENT1_11result_typeERKT_PrKPcPKT0_PKN3c1010ScalarTypeEi: ; @_ZN2at6native6invokeIZZZNS0_12_GLOBAL__N_121bessel_y0_kernel_cudaERNS_18TensorIteratorBaseEENKUlvE_clEvENKUlvE_clEvEUldE_i15function_traitsIS7_EEENT1_11result_typeERKT_PrKPcPKT0_PKN3c1010ScalarTypeEi
; %bb.0:
	s_waitcnt vmcnt(0) expcnt(0) lgkmcnt(0)
	buffer_store_dword v40, off, s[0:3], s32 offset:52 ; 4-byte Folded Spill
	buffer_store_dword v41, off, s[0:3], s32 offset:48 ; 4-byte Folded Spill
	;; [unrolled: 1-line block ×13, first 2 shown]
	buffer_store_dword v61, off, s[0:3], s32 ; 4-byte Folded Spill
	v_mul_lo_u32 v2, v4, v2
	s_mov_b64 s[6:7], 0
	v_ashrrev_i32_e32 v4, 31, v2
	v_add_co_u32_e32 v0, vcc, v0, v2
	v_mov_b32_e32 v2, 10
	v_addc_co_u32_e32 v1, vcc, v1, v4, vcc
	v_cmp_gt_i16_sdwa s[4:5], v3, v2 src0_sel:BYTE_0 src1_sel:DWORD
                                        ; implicit-def: $vgpr4_vgpr5
	s_and_saveexec_b64 s[8:9], s[4:5]
	s_xor_b64 s[4:5], exec, s[8:9]
	s_cbranch_execz .LBB8_42
; %bb.1:
	v_mov_b32_e32 v2, 25
	v_cmp_gt_i16_sdwa s[10:11], v3, v2 src0_sel:BYTE_0 src1_sel:DWORD
	s_mov_b64 s[12:13], 0
	s_mov_b64 s[8:9], 0
                                        ; implicit-def: $vgpr4_vgpr5
	s_and_saveexec_b64 s[14:15], s[10:11]
	s_xor_b64 s[10:11], exec, s[14:15]
	s_cbranch_execz .LBB8_97
; %bb.2:
	v_mov_b32_e32 v2, 28
	v_cmp_gt_i16_sdwa s[8:9], v3, v2 src0_sel:BYTE_0 src1_sel:DWORD
	s_mov_b64 s[14:15], 0
                                        ; implicit-def: $vgpr4_vgpr5
	s_and_saveexec_b64 s[16:17], s[8:9]
	s_xor_b64 s[8:9], exec, s[16:17]
	s_cbranch_execz .LBB8_18
; %bb.3:
	v_mov_b32_e32 v2, 43
	v_cmp_gt_i16_sdwa s[12:13], v3, v2 src0_sel:BYTE_0 src1_sel:DWORD
	s_mov_b64 s[16:17], 0
	s_mov_b64 s[18:19], 0
                                        ; implicit-def: $vgpr4_vgpr5
	s_and_saveexec_b64 s[14:15], s[12:13]
	s_xor_b64 s[12:13], exec, s[14:15]
	s_cbranch_execz .LBB8_13
; %bb.4:
	v_mov_b32_e32 v2, 45
	v_cmp_gt_i16_sdwa s[18:19], v3, v2 src0_sel:BYTE_0 src1_sel:DWORD
	s_mov_b64 s[14:15], 0
                                        ; implicit-def: $vgpr4_vgpr5
	s_and_saveexec_b64 s[20:21], s[18:19]
	s_xor_b64 s[18:19], exec, s[20:21]
	s_cbranch_execz .LBB8_8
; %bb.5:
	v_mov_b32_e32 v2, 46
	v_cmp_eq_u16_sdwa s[22:23], v3, v2 src0_sel:BYTE_0 src1_sel:DWORD
	s_mov_b64 s[20:21], -1
                                        ; implicit-def: $vgpr4_vgpr5
	s_and_saveexec_b64 s[16:17], s[22:23]
	s_cbranch_execz .LBB8_7
; %bb.6:
	flat_load_dword v2, v[0:1]
	s_mov_b64 s[14:15], exec
	s_xor_b64 s[20:21], exec, -1
	s_waitcnt vmcnt(0) lgkmcnt(0)
	v_lshlrev_b32_e32 v2, 16, v2
	v_cvt_f64_f32_e32 v[4:5], v2
.LBB8_7:
	s_or_b64 exec, exec, s[16:17]
	s_and_b64 s[16:17], s[14:15], exec
	s_and_b64 s[14:15], s[20:21], exec
                                        ; implicit-def: $vgpr3
.LBB8_8:
	s_andn2_saveexec_b64 s[18:19], s[18:19]
	s_cbranch_execz .LBB8_12
; %bb.9:
	v_mov_b32_e32 v2, 44
	v_cmp_eq_u16_sdwa s[26:27], v3, v2 src0_sel:BYTE_0 src1_sel:DWORD
	s_mov_b64 s[24:25], -1
	s_mov_b64 s[22:23], s[16:17]
                                        ; implicit-def: $vgpr4_vgpr5
	s_and_saveexec_b64 s[20:21], s[26:27]
	s_cbranch_execz .LBB8_11
; %bb.10:
	flat_load_ubyte v4, v[0:1]
	s_movk_i32 s24, 0xff
	v_bfrev_b32_e32 v5, 4
	v_mov_b32_e32 v6, 0x7ff80000
	v_bfrev_b32_e32 v7, 28
	s_or_b64 s[22:23], s[16:17], exec
	s_waitcnt vmcnt(0) lgkmcnt(0)
	v_lshlrev_b32_e32 v2, 23, v4
	v_cvt_f64_f32_e32 v[2:3], v2
	v_cmp_ne_u32_e32 vcc, s24, v4
	s_xor_b64 s[24:25], exec, -1
	v_cndmask_b32_e32 v2, v5, v2, vcc
	v_cndmask_b32_e32 v3, v6, v3, vcc
	v_cmp_ne_u32_e32 vcc, 0, v4
	v_cndmask_b32_e32 v5, v7, v3, vcc
	v_cndmask_b32_e32 v4, 0, v2, vcc
.LBB8_11:
	s_or_b64 exec, exec, s[20:21]
	s_andn2_b64 s[16:17], s[16:17], exec
	s_and_b64 s[20:21], s[22:23], exec
	s_or_b64 s[16:17], s[16:17], s[20:21]
	s_andn2_b64 s[14:15], s[14:15], exec
	s_and_b64 s[20:21], s[24:25], exec
	s_or_b64 s[14:15], s[14:15], s[20:21]
.LBB8_12:
	s_or_b64 exec, exec, s[18:19]
	s_and_b64 s[18:19], s[16:17], exec
	s_and_b64 s[16:17], s[14:15], exec
                                        ; implicit-def: $vgpr3
.LBB8_13:
	s_andn2_saveexec_b64 s[12:13], s[12:13]
	s_cbranch_execz .LBB8_17
; %bb.14:
	v_mov_b32_e32 v2, 29
	v_cmp_eq_u16_sdwa s[24:25], v3, v2 src0_sel:BYTE_0 src1_sel:DWORD
	s_mov_b64 s[14:15], -1
	s_mov_b64 s[20:21], s[18:19]
                                        ; implicit-def: $vgpr4_vgpr5
	s_and_saveexec_b64 s[22:23], s[24:25]
	s_cbranch_execz .LBB8_16
; %bb.15:
	flat_load_dwordx2 v[2:3], v[0:1]
	s_or_b64 s[20:21], s[18:19], exec
	s_xor_b64 s[14:15], exec, -1
	s_waitcnt vmcnt(0) lgkmcnt(0)
	v_cvt_f64_u32_e32 v[3:4], v3
	v_cvt_f64_u32_e32 v[5:6], v2
	v_ldexp_f64 v[3:4], v[3:4], 32
	v_add_f64 v[4:5], v[3:4], v[5:6]
.LBB8_16:
	s_or_b64 exec, exec, s[22:23]
	s_andn2_b64 s[18:19], s[18:19], exec
	s_and_b64 s[20:21], s[20:21], exec
	s_andn2_b64 s[16:17], s[16:17], exec
	s_and_b64 s[14:15], s[14:15], exec
	s_or_b64 s[18:19], s[18:19], s[20:21]
	s_or_b64 s[16:17], s[16:17], s[14:15]
.LBB8_17:
	s_or_b64 exec, exec, s[12:13]
	s_and_b64 s[14:15], s[18:19], exec
	s_and_b64 s[12:13], s[16:17], exec
                                        ; implicit-def: $vgpr3
.LBB8_18:
	s_andn2_saveexec_b64 s[8:9], s[8:9]
	s_cbranch_execz .LBB8_36
; %bb.19:
	v_mov_b32_e32 v2, 26
	v_cmp_gt_i16_sdwa s[16:17], v3, v2 src0_sel:BYTE_0 src1_sel:DWORD
                                        ; implicit-def: $vgpr4_vgpr5
	s_and_saveexec_b64 s[18:19], s[16:17]
	s_xor_b64 s[16:17], exec, s[18:19]
	s_cbranch_execz .LBB8_25
; %bb.20:
	v_mov_b32_e32 v2, 27
	v_cmp_gt_i16_sdwa s[18:19], v3, v2 src0_sel:BYTE_0 src1_sel:DWORD
                                        ; implicit-def: $vgpr4_vgpr5
	s_and_saveexec_b64 s[20:21], s[18:19]
	s_xor_b64 s[18:19], exec, s[20:21]
	s_cbranch_execz .LBB8_22
; %bb.21:
	flat_load_dword v2, v[0:1]
	s_waitcnt vmcnt(0) lgkmcnt(0)
	v_cvt_f64_u32_e32 v[4:5], v2
.LBB8_22:
	s_andn2_saveexec_b64 s[18:19], s[18:19]
	s_cbranch_execz .LBB8_24
; %bb.23:
	flat_load_ushort v2, v[0:1]
	s_waitcnt vmcnt(0) lgkmcnt(0)
	v_cvt_f64_u32_e32 v[4:5], v2
.LBB8_24:
	s_or_b64 exec, exec, s[18:19]
.LBB8_25:
	s_andn2_saveexec_b64 s[16:17], s[16:17]
	s_cbranch_execz .LBB8_35
; %bb.26:
	flat_load_ubyte v2, v[0:1]
	s_movk_i32 s18, 0x7f
	s_waitcnt vmcnt(0) lgkmcnt(0)
	v_cmp_lt_i16_e32 vcc, s18, v2
	s_mov_b64 s[18:19], 0
	s_and_saveexec_b64 s[20:21], vcc
	s_xor_b64 s[20:21], exec, s[20:21]
	s_cbranch_execz .LBB8_30
; %bb.27:
	s_movk_i32 s18, 0x80
	v_cmp_eq_u16_e32 vcc, s18, v2
	s_mov_b64 s[18:19], -1
	s_and_saveexec_b64 s[22:23], vcc
; %bb.28:
	s_xor_b64 s[18:19], exec, -1
; %bb.29:
	s_or_b64 exec, exec, s[22:23]
	s_and_b64 s[18:19], s[18:19], exec
.LBB8_30:
	s_or_saveexec_b64 s[20:21], s[20:21]
	v_bfrev_b32_e32 v4, 4
	v_mov_b32_e32 v5, 0x7ff80000
	s_xor_b64 exec, exec, s[20:21]
; %bb.31:
	v_cmp_ne_u16_e32 vcc, 0, v2
	v_mov_b32_e32 v4, 0
	s_andn2_b64 s[18:19], s[18:19], exec
	s_and_b64 s[22:23], vcc, exec
	v_mov_b32_e32 v5, 0
	s_or_b64 s[18:19], s[18:19], s[22:23]
; %bb.32:
	s_or_b64 exec, exec, s[20:21]
	s_and_saveexec_b64 s[20:21], s[18:19]
	s_cbranch_execz .LBB8_34
; %bb.33:
	v_lshlrev_b32_e32 v3, 24, v2
	v_and_b32_e32 v2, 0xffff, v2
	v_and_b32_e32 v4, 7, v2
	v_ffbh_u32_e32 v6, v4
	v_min_u32_e32 v6, 32, v6
	v_subrev_u32_e32 v7, 28, v6
	v_bfe_u32 v5, v2, 3, 4
	v_lshlrev_b32_e32 v2, v7, v2
	v_sub_u32_e32 v6, 29, v6
	v_and_b32_e32 v2, 7, v2
	v_cmp_eq_u32_e32 vcc, 0, v5
	v_cndmask_b32_e32 v5, v5, v6, vcc
	v_cndmask_b32_e32 v2, v4, v2, vcc
	v_mov_b32_e32 v4, 0x3b800000
	v_lshlrev_b32_e32 v2, 20, v2
	v_and_b32_e32 v3, 0x80000000, v3
	v_lshl_add_u32 v4, v5, 23, v4
	v_or3_b32 v2, v3, v4, v2
	v_cvt_f64_f32_e32 v[4:5], v2
.LBB8_34:
	s_or_b64 exec, exec, s[20:21]
.LBB8_35:
	s_or_b64 exec, exec, s[16:17]
	s_or_b64 s[14:15], s[14:15], exec
.LBB8_36:
	s_or_b64 exec, exec, s[8:9]
	s_and_b64 s[8:9], s[14:15], exec
	s_and_b64 s[12:13], s[12:13], exec
                                        ; implicit-def: $vgpr3
	s_andn2_saveexec_b64 s[10:11], s[10:11]
	s_cbranch_execnz .LBB8_98
.LBB8_37:
	s_or_b64 exec, exec, s[10:11]
	s_and_saveexec_b64 s[10:11], s[12:13]
	s_cbranch_execnz .LBB8_125
.LBB8_38:
	s_or_b64 exec, exec, s[10:11]
	s_and_saveexec_b64 s[10:11], s[6:7]
	s_xor_b64 s[6:7], exec, s[10:11]
	s_cbranch_execz .LBB8_40
.LBB8_39:
	flat_load_ubyte v0, v[0:1]
	v_mov_b32_e32 v1, 0x3ff00000
	v_mov_b32_e32 v4, 0
	s_or_b64 s[8:9], s[8:9], exec
	s_waitcnt vmcnt(0) lgkmcnt(0)
	v_cmp_ne_u16_e32 vcc, 0, v0
	v_cndmask_b32_e32 v5, 0, v1, vcc
.LBB8_40:
	s_or_b64 exec, exec, s[6:7]
	s_and_b64 s[6:7], s[8:9], exec
                                        ; implicit-def: $vgpr3
                                        ; implicit-def: $vgpr0_vgpr1
	s_andn2_saveexec_b64 s[4:5], s[4:5]
	s_cbranch_execnz .LBB8_43
.LBB8_41:
	s_or_b64 exec, exec, s[4:5]
                                        ; implicit-def: $vgpr0_vgpr1
	s_and_saveexec_b64 s[10:11], s[6:7]
	s_cbranch_execnz .LBB8_84
	s_branch .LBB8_134
.LBB8_42:
	s_andn2_saveexec_b64 s[4:5], s[4:5]
	s_cbranch_execz .LBB8_41
.LBB8_43:
	v_mov_b32_e32 v2, 4
	v_cmp_gt_i16_sdwa s[8:9], v3, v2 src0_sel:BYTE_0 src1_sel:DWORD
                                        ; implicit-def: $vgpr4_vgpr5
	s_and_saveexec_b64 s[10:11], s[8:9]
	s_xor_b64 s[8:9], exec, s[10:11]
	s_cbranch_execz .LBB8_65
; %bb.44:
	v_mov_b32_e32 v2, 7
	v_cmp_gt_i16_sdwa s[10:11], v3, v2 src0_sel:BYTE_0 src1_sel:DWORD
                                        ; implicit-def: $vgpr4_vgpr5
	s_and_saveexec_b64 s[12:13], s[10:11]
	s_xor_b64 s[10:11], exec, s[12:13]
	s_cbranch_execz .LBB8_54
; %bb.45:
	;; [unrolled: 7-line block ×4, first 2 shown]
	flat_load_dwordx2 v[4:5], v[0:1]
                                        ; implicit-def: $vgpr0_vgpr1
.LBB8_48:
	s_andn2_saveexec_b64 s[14:15], s[14:15]
	s_cbranch_execz .LBB8_50
; %bb.49:
	flat_load_dword v0, v[0:1]
	s_waitcnt vmcnt(0) lgkmcnt(0)
	v_cvt_f64_f32_e32 v[4:5], v0
.LBB8_50:
	s_or_b64 exec, exec, s[14:15]
                                        ; implicit-def: $vgpr0_vgpr1
.LBB8_51:
	s_andn2_saveexec_b64 s[12:13], s[12:13]
	s_cbranch_execz .LBB8_53
; %bb.52:
	flat_load_dword v0, v[0:1]
	s_waitcnt vmcnt(0) lgkmcnt(0)
	v_cvt_f32_f16_e32 v0, v0
	v_cvt_f64_f32_e32 v[4:5], v0
.LBB8_53:
	s_or_b64 exec, exec, s[12:13]
                                        ; implicit-def: $vgpr0_vgpr1
                                        ; implicit-def: $vgpr3
.LBB8_54:
	s_andn2_saveexec_b64 s[10:11], s[10:11]
	s_cbranch_execz .LBB8_64
; %bb.55:
	v_mov_b32_e32 v2, 5
	v_cmp_gt_i16_sdwa s[12:13], v3, v2 src0_sel:BYTE_0 src1_sel:DWORD
                                        ; implicit-def: $vgpr4_vgpr5
	s_and_saveexec_b64 s[14:15], s[12:13]
	s_xor_b64 s[12:13], exec, s[14:15]
	s_cbranch_execz .LBB8_61
; %bb.56:
	v_mov_b32_e32 v2, 6
	v_cmp_gt_i16_sdwa s[14:15], v3, v2 src0_sel:BYTE_0 src1_sel:DWORD
                                        ; implicit-def: $vgpr4_vgpr5
	s_and_saveexec_b64 s[16:17], s[14:15]
	s_xor_b64 s[14:15], exec, s[16:17]
	s_cbranch_execz .LBB8_58
; %bb.57:
	s_waitcnt vmcnt(0) lgkmcnt(0)
	flat_load_dwordx2 v[4:5], v[0:1]
                                        ; implicit-def: $vgpr0_vgpr1
.LBB8_58:
	s_andn2_saveexec_b64 s[14:15], s[14:15]
	s_cbranch_execz .LBB8_60
; %bb.59:
	flat_load_dword v0, v[0:1]
	s_waitcnt vmcnt(0) lgkmcnt(0)
	v_cvt_f64_f32_e32 v[4:5], v0
.LBB8_60:
	s_or_b64 exec, exec, s[14:15]
                                        ; implicit-def: $vgpr0_vgpr1
.LBB8_61:
	s_andn2_saveexec_b64 s[12:13], s[12:13]
	s_cbranch_execz .LBB8_63
; %bb.62:
	flat_load_ushort v0, v[0:1]
	s_waitcnt vmcnt(0) lgkmcnt(0)
	v_cvt_f32_f16_e32 v0, v0
	v_cvt_f64_f32_e32 v[4:5], v0
.LBB8_63:
	s_or_b64 exec, exec, s[12:13]
.LBB8_64:
	s_or_b64 exec, exec, s[10:11]
                                        ; implicit-def: $vgpr3
                                        ; implicit-def: $vgpr0_vgpr1
.LBB8_65:
	s_andn2_saveexec_b64 s[8:9], s[8:9]
	s_cbranch_execz .LBB8_83
; %bb.66:
	v_mov_b32_e32 v2, 1
	v_cmp_gt_i16_sdwa s[10:11], v3, v2 src0_sel:BYTE_0 src1_sel:DWORD
                                        ; implicit-def: $vgpr4_vgpr5
	s_and_saveexec_b64 s[12:13], s[10:11]
	s_xor_b64 s[10:11], exec, s[12:13]
	s_cbranch_execz .LBB8_76
; %bb.67:
	v_mov_b32_e32 v2, 2
	v_cmp_gt_i16_sdwa s[12:13], v3, v2 src0_sel:BYTE_0 src1_sel:DWORD
                                        ; implicit-def: $vgpr4_vgpr5
	s_and_saveexec_b64 s[14:15], s[12:13]
	s_xor_b64 s[12:13], exec, s[14:15]
	;; [unrolled: 7-line block ×3, first 2 shown]
	s_cbranch_execz .LBB8_70
; %bb.69:
	flat_load_dwordx2 v[0:1], v[0:1]
	s_waitcnt vmcnt(0) lgkmcnt(0)
	v_cvt_f64_i32_e32 v[1:2], v1
	v_cvt_f64_u32_e32 v[3:4], v0
	v_ldexp_f64 v[1:2], v[1:2], 32
	v_add_f64 v[4:5], v[1:2], v[3:4]
                                        ; implicit-def: $vgpr0_vgpr1
.LBB8_70:
	s_andn2_saveexec_b64 s[14:15], s[14:15]
	s_cbranch_execz .LBB8_72
; %bb.71:
	flat_load_dword v0, v[0:1]
	s_waitcnt vmcnt(0) lgkmcnt(0)
	v_cvt_f64_i32_e32 v[4:5], v0
.LBB8_72:
	s_or_b64 exec, exec, s[14:15]
                                        ; implicit-def: $vgpr0_vgpr1
.LBB8_73:
	s_andn2_saveexec_b64 s[12:13], s[12:13]
	s_cbranch_execz .LBB8_75
; %bb.74:
	flat_load_sshort v0, v[0:1]
	s_waitcnt vmcnt(0) lgkmcnt(0)
	v_cvt_f64_i32_e32 v[4:5], v0
.LBB8_75:
	s_or_b64 exec, exec, s[12:13]
                                        ; implicit-def: $vgpr0_vgpr1
                                        ; implicit-def: $vgpr3
.LBB8_76:
	s_andn2_saveexec_b64 s[10:11], s[10:11]
	s_cbranch_execz .LBB8_82
; %bb.77:
	v_mov_b32_e32 v2, 0
	v_cmp_gt_i16_sdwa s[12:13], v3, v2 src0_sel:BYTE_0 src1_sel:DWORD
                                        ; implicit-def: $vgpr4_vgpr5
	s_and_saveexec_b64 s[14:15], s[12:13]
	s_xor_b64 s[12:13], exec, s[14:15]
	s_cbranch_execz .LBB8_79
; %bb.78:
	flat_load_sbyte v0, v[0:1]
	s_waitcnt vmcnt(0) lgkmcnt(0)
	v_cvt_f64_i32_e32 v[4:5], v0
                                        ; implicit-def: $vgpr0_vgpr1
.LBB8_79:
	s_andn2_saveexec_b64 s[12:13], s[12:13]
	s_cbranch_execz .LBB8_81
; %bb.80:
	flat_load_ubyte v0, v[0:1]
	s_waitcnt vmcnt(0) lgkmcnt(0)
	v_cvt_f64_u32_e32 v[4:5], v0
.LBB8_81:
	s_or_b64 exec, exec, s[12:13]
.LBB8_82:
	s_or_b64 exec, exec, s[10:11]
.LBB8_83:
	s_or_b64 exec, exec, s[8:9]
	s_or_b64 s[6:7], s[6:7], exec
	s_or_b64 exec, exec, s[4:5]
                                        ; implicit-def: $vgpr0_vgpr1
	s_and_saveexec_b64 s[10:11], s[6:7]
	s_cbranch_execz .LBB8_134
.LBB8_84:
	s_mov_b32 s4, 0
	s_mov_b32 s5, 0x40140000
	s_waitcnt vmcnt(0) lgkmcnt(0)
	v_cmp_ge_f64_e32 vcc, s[4:5], v[4:5]
                                        ; implicit-def: $vgpr0_vgpr1
	s_and_saveexec_b64 s[4:5], vcc
	s_xor_b64 s[4:5], exec, s[4:5]
	s_cbranch_execz .LBB8_94
; %bb.85:
	v_cmp_neq_f64_e32 vcc, 0, v[4:5]
	v_mov_b32_e32 v0, 0
	v_mov_b32_e32 v1, 0xfff00000
	s_and_saveexec_b64 s[6:7], vcc
	s_cbranch_execz .LBB8_93
; %bb.86:
	v_cmp_ngt_f64_e32 vcc, 0, v[4:5]
	v_mov_b32_e32 v0, 0
	v_mov_b32_e32 v1, 0x7ff80000
	s_and_saveexec_b64 s[8:9], vcc
	s_cbranch_execz .LBB8_92
; %bb.87:
	v_mul_f64 v[0:1], v[4:5], v[4:5]
	s_mov_b32 s12, 0x88e368f1
	s_mov_b32 s13, 0x3ee4f8b5
	v_cmp_ngt_f64_e32 vcc, s[12:13], v[4:5]
                                        ; implicit-def: $vgpr2_vgpr3
	v_mul_f64 v[6:7], v[0:1], 0
	s_and_saveexec_b64 s[12:13], vcc
	s_xor_b64 s[12:13], exec, s[12:13]
	s_cbranch_execz .LBB8_89
; %bb.88:
	s_mov_b32 s14, 0xa696b78c
	s_mov_b32 s15, 0x407f3902
	v_add_f64 v[2:3], v[6:7], s[14:15]
	s_mov_b32 s14, 0x36a21a67
	s_mov_b32 s15, 0x410536cb
	;; [unrolled: 1-line block ×7, first 2 shown]
	v_fma_f64 v[2:3], v[0:1], v[2:3], s[14:15]
	s_mov_b32 s14, 0x2eac0634
	s_mov_b32 s15, 0x41871934
	;; [unrolled: 1-line block ×3, first 2 shown]
	v_fma_f64 v[2:3], v[0:1], v[2:3], s[14:15]
	s_mov_b32 s14, 0xad1c8325
	s_mov_b32 s15, 0xc1f1dc53
	v_add_f64 v[8:9], v[6:7], s[14:15]
	s_mov_b32 s14, 0xe0d900f7
	s_mov_b32 s15, 0xc2ec5614
	v_fma_f64 v[2:3], v[0:1], v[2:3], s[18:19]
	s_mov_b32 s18, 0x72182e46
	s_mov_b32 s19, 0x427ebeb3
	v_fma_f64 v[8:9], v[0:1], v[8:9], s[16:17]
	s_mov_b32 s16, 0x80462bbb
	s_mov_b32 s17, 0xc01721fb
	v_add_f64 v[10:11], v[0:1], s[16:17]
	s_mov_b32 s16, 0x69ff5fb4
	v_fma_f64 v[2:3], v[0:1], v[2:3], s[18:19]
	s_mov_b32 s18, 0xa621dd6f
	s_mov_b32 s19, 0xc03e78a4
	v_add_f64 v[12:13], v[0:1], s[18:19]
	v_fma_f64 v[8:9], v[0:1], v[8:9], s[14:15]
	s_mov_b32 s14, 0x7e7b2e9c
	s_mov_b32 s15, 0x435c4141
	;; [unrolled: 1-line block ×3, first 2 shown]
	v_fma_f64 v[2:3], v[0:1], v[2:3], s[20:21]
	v_mul_f64 v[10:11], v[10:11], v[12:13]
	v_fma_f64 v[8:9], v[0:1], v[8:9], s[16:17]
	v_fma_f64 v[2:3], v[0:1], v[2:3], s[14:15]
	s_mov_b32 s14, 0xc7b662cc
	s_mov_b32 s15, 0x43b7be34
	v_mul_f64 v[8:9], v[10:11], v[8:9]
	v_fma_f64 v[2:3], v[0:1], v[2:3], s[14:15]
	v_div_scale_f64 v[10:11], s[14:15], v[2:3], v[2:3], v[8:9]
	v_div_scale_f64 v[16:17], vcc, v[8:9], v[2:3], v[8:9]
	v_rcp_f64_e32 v[12:13], v[10:11]
	v_fma_f64 v[14:15], -v[10:11], v[12:13], 1.0
	v_fma_f64 v[12:13], v[12:13], v[14:15], v[12:13]
	v_fma_f64 v[14:15], -v[10:11], v[12:13], 1.0
	v_fma_f64 v[12:13], v[12:13], v[14:15], v[12:13]
	v_mul_f64 v[14:15], v[16:17], v[12:13]
	v_fma_f64 v[10:11], -v[10:11], v[14:15], v[16:17]
	v_div_fmas_f64 v[10:11], v[10:11], v[12:13], v[14:15]
	v_div_fixup_f64 v[2:3], v[10:11], v[2:3], v[8:9]
.LBB8_89:
	s_andn2_saveexec_b64 s[12:13], s[12:13]
	s_cbranch_execz .LBB8_91
; %bb.90:
	s_mov_b32 s14, 0
	s_mov_b32 s15, 0xbfd00000
	v_fma_f64 v[2:3], v[0:1], s[14:15], 1.0
.LBB8_91:
	s_or_b64 exec, exec, s[12:13]
	v_frexp_mant_f64_e32 v[8:9], v[4:5]
	s_mov_b32 s13, 0x3fe55555
	s_mov_b32 s12, 0x55555555
	;; [unrolled: 1-line block ×7, first 2 shown]
	v_cmp_gt_f64_e32 vcc, s[12:13], v[8:9]
	s_mov_b32 s25, 0x3fcc71c0
	s_mov_b32 s16, 0x32e48896
	;; [unrolled: 1-line block ×7, first 2 shown]
	v_cndmask_b32_e64 v10, 0, 1, vcc
	v_ldexp_f64 v[10:11], v[8:9], v10
	s_mov_b32 s12, 0x55555780
	s_mov_b32 s26, 0xd1d8cc02
	;; [unrolled: 1-line block ×3, first 2 shown]
	v_add_f64 v[12:13], v[10:11], 1.0
	v_add_f64 v[16:17], v[10:11], -1.0
	v_rcp_f64_e32 v[8:9], v[12:13]
	v_add_f64 v[18:19], v[12:13], -1.0
	v_add_f64 v[10:11], v[10:11], -v[18:19]
	v_fma_f64 v[14:15], -v[12:13], v[8:9], 1.0
	v_fma_f64 v[8:9], v[14:15], v[8:9], v[8:9]
	v_fma_f64 v[14:15], -v[12:13], v[8:9], 1.0
	v_fma_f64 v[14:15], v[14:15], v[8:9], v[8:9]
	v_mul_f64 v[8:9], v[16:17], v[14:15]
	v_mul_f64 v[20:21], v[12:13], v[8:9]
	v_fma_f64 v[12:13], v[8:9], v[12:13], -v[20:21]
	v_fma_f64 v[10:11], v[8:9], v[10:11], v[12:13]
	v_add_f64 v[12:13], v[20:21], v[10:11]
	v_add_f64 v[18:19], v[16:17], -v[12:13]
	v_add_f64 v[20:21], v[12:13], -v[20:21]
	v_add_f64 v[16:17], v[16:17], -v[18:19]
	v_add_f64 v[10:11], v[20:21], -v[10:11]
	v_frexp_exp_i32_f64_e32 v20, v[4:5]
	v_add_f64 v[12:13], v[16:17], -v[12:13]
	v_mov_b32_e32 v16, 0x6b47b09a
	v_mov_b32_e32 v17, 0x3fc38538
	v_subbrev_co_u32_e32 v20, vcc, 0, v20, vcc
	v_add_f64 v[10:11], v[10:11], v[12:13]
	v_add_f64 v[10:11], v[18:19], v[10:11]
	v_mul_f64 v[10:11], v[14:15], v[10:11]
	v_add_f64 v[12:13], v[8:9], v[10:11]
	v_mul_f64 v[14:15], v[12:13], v[12:13]
	v_add_f64 v[8:9], v[12:13], -v[8:9]
	v_fma_f64 v[16:17], v[14:15], s[14:15], v[16:17]
	s_mov_b32 s14, 0xe896898f
	s_mov_b32 s15, 0x40ce7437
	v_add_f64 v[18:19], v[6:7], s[14:15]
	s_mov_b32 s14, 0x9b27acf1
	s_mov_b32 s15, 0x3fd24924
	v_add_f64 v[6:7], v[6:7], s[22:23]
	s_mov_b32 s22, 0x998ef7b6
	v_fma_f64 v[16:17], v[14:15], v[16:17], s[20:21]
	s_mov_b32 s23, 0x3fd99999
	v_mul_f64 v[4:5], v[12:13], v[14:15]
	v_fma_f64 v[18:19], v[0:1], v[18:19], s[16:17]
	s_mov_b32 s20, 0xe1d6bd2b
	s_mov_b32 s21, 0xc26c957b
	v_add_f64 v[8:9], v[10:11], -v[8:9]
	s_mov_b32 s16, 0x660b4003
	v_fma_f64 v[16:17], v[14:15], v[16:17], s[24:25]
	s_mov_b32 s24, 0x3cc3ac2d
	s_mov_b32 s25, 0x42d3ea72
	v_fma_f64 v[18:19], v[0:1], v[18:19], s[18:19]
	s_mov_b32 s18, 0xfefa39ef
	s_mov_b32 s19, 0x3fe62e42
	;; [unrolled: 1-line block ×3, first 2 shown]
	v_ldexp_f64 v[8:9], v[8:9], 1
	v_fma_f64 v[16:17], v[14:15], v[16:17], s[14:15]
	s_mov_b32 s14, 0xa907bc0c
	s_mov_b32 s15, 0x41231b76
	v_fma_f64 v[6:7], v[0:1], v[6:7], s[14:15]
	s_mov_b32 s14, 0xc57e828e
	s_mov_b32 s15, 0x42b275fc
	;; [unrolled: 3-line block ×3, first 2 shown]
	v_fma_f64 v[6:7], v[0:1], v[6:7], s[22:23]
	v_fma_f64 v[14:15], v[14:15], v[16:17], s[12:13]
	;; [unrolled: 1-line block ×3, first 2 shown]
	v_ldexp_f64 v[18:19], v[12:13], 1
	s_mov_b32 s12, 0x2b8664bc
	s_mov_b32 s13, 0x42341ddb
	v_fma_f64 v[6:7], v[0:1], v[6:7], s[12:13]
	v_cvt_f64_i32_e32 v[12:13], v20
	s_mov_b32 s12, 0xdfeb596d
	v_mul_f64 v[4:5], v[4:5], v[14:15]
	v_fma_f64 v[14:15], v[0:1], v[16:17], s[24:25]
	v_mul_f64 v[20:21], v[12:13], s[18:19]
	s_mov_b32 s13, 0x43268910
	v_fma_f64 v[6:7], v[0:1], v[6:7], s[14:15]
	s_mov_b32 s14, 0xbcf9b5d0
	s_mov_b32 s15, 0x438bd25f
	v_add_f64 v[16:17], v[18:19], v[4:5]
	v_fma_f64 v[14:15], v[0:1], v[14:15], s[26:27]
	v_fma_f64 v[6:7], v[0:1], v[6:7], s[12:13]
	s_mov_b32 s12, 0x5906367b
	s_mov_b32 s13, 0xc3506d4b
	v_add_f64 v[18:19], v[16:17], -v[18:19]
	v_fma_f64 v[10:11], v[0:1], v[14:15], s[16:17]
	v_fma_f64 v[14:15], v[12:13], s[18:19], -v[20:21]
	v_fma_f64 v[6:7], v[0:1], v[6:7], s[14:15]
	v_add_f64 v[4:5], v[4:5], -v[18:19]
	v_fma_f64 v[0:1], v[0:1], v[10:11], s[12:13]
	s_mov_b32 s12, 0x3b39803f
	s_mov_b32 s13, 0x3c7abc9e
	v_fma_f64 v[10:11], v[12:13], s[12:13], v[14:15]
	v_add_f64 v[4:5], v[8:9], v[4:5]
	v_div_scale_f64 v[8:9], s[12:13], v[6:7], v[6:7], v[0:1]
	s_mov_b32 s12, 0x6dc9c883
	v_add_f64 v[12:13], v[20:21], v[10:11]
	s_mov_b32 s13, 0x3fe45f30
	v_add_f64 v[14:15], v[16:17], v[4:5]
	v_add_f64 v[20:21], v[12:13], -v[20:21]
	v_add_f64 v[18:19], v[12:13], v[14:15]
	v_rcp_f64_e32 v[22:23], v[8:9]
	v_add_f64 v[16:17], v[14:15], -v[16:17]
	v_add_f64 v[10:11], v[10:11], -v[20:21]
	;; [unrolled: 1-line block ×5, first 2 shown]
	v_fma_f64 v[28:29], -v[8:9], v[22:23], 1.0
	v_add_f64 v[14:15], v[14:15], -v[24:25]
	v_add_f64 v[20:21], v[10:11], v[4:5]
	v_add_f64 v[12:13], v[12:13], -v[26:27]
	v_fma_f64 v[16:17], v[22:23], v[28:29], v[22:23]
	v_div_scale_f64 v[22:23], vcc, v[0:1], v[6:7], v[0:1]
	v_add_f64 v[24:25], v[20:21], -v[10:11]
	v_add_f64 v[12:13], v[14:15], v[12:13]
	v_fma_f64 v[14:15], -v[8:9], v[16:17], 1.0
	v_add_f64 v[4:5], v[4:5], -v[24:25]
	v_add_f64 v[12:13], v[20:21], v[12:13]
	v_fma_f64 v[14:15], v[16:17], v[14:15], v[16:17]
	v_add_f64 v[16:17], v[20:21], -v[24:25]
	v_add_f64 v[20:21], v[18:19], v[12:13]
	v_mul_f64 v[26:27], v[22:23], v[14:15]
	v_add_f64 v[10:11], v[10:11], -v[16:17]
	v_add_f64 v[16:17], v[20:21], -v[18:19]
	v_fma_f64 v[8:9], -v[8:9], v[26:27], v[22:23]
	v_add_f64 v[4:5], v[4:5], v[10:11]
	v_add_f64 v[10:11], v[12:13], -v[16:17]
	v_div_fmas_f64 v[8:9], v[8:9], v[14:15], v[26:27]
	v_add_f64 v[4:5], v[4:5], v[10:11]
	v_add_f64 v[4:5], v[20:21], v[4:5]
	v_div_fixup_f64 v[0:1], v[8:9], v[6:7], v[0:1]
	v_mul_f64 v[4:5], v[4:5], s[12:13]
	v_fma_f64 v[0:1], v[4:5], v[2:3], v[0:1]
.LBB8_92:
	s_or_b64 exec, exec, s[8:9]
.LBB8_93:
	s_or_b64 exec, exec, s[6:7]
                                        ; implicit-def: $vgpr4_vgpr5
.LBB8_94:
	s_andn2_saveexec_b64 s[12:13], s[4:5]
	s_cbranch_execz .LBB8_133
; %bb.95:
	s_mov_b32 s9, 0xbfe921fb
	s_mov_b32 s8, 0x54442d18
	v_add_f64 v[0:1], v[4:5], s[8:9]
	s_mov_b32 s4, 0
	s_mov_b32 s5, 0x41d00000
                                        ; implicit-def: $vgpr36
                                        ; implicit-def: $vgpr2_vgpr3
                                        ; implicit-def: $vgpr6_vgpr7
	v_trig_preop_f64 v[16:17], |v[0:1]|, 0
	v_trig_preop_f64 v[14:15], |v[0:1]|, 1
	;; [unrolled: 1-line block ×3, first 2 shown]
	v_cmp_nlt_f64_e64 s[6:7], |v[0:1]|, s[4:5]
	s_and_saveexec_b64 s[4:5], s[6:7]
	s_xor_b64 s[14:15], exec, s[4:5]
	s_cbranch_execz .LBB8_126
; %bb.96:
	s_mov_b32 s4, 0
	s_mov_b32 s5, 0x7b000000
	s_movk_i32 s9, 0xff80
	v_ldexp_f64 v[2:3], |v[0:1]|, s9
	v_cmp_ge_f64_e64 vcc, |v[0:1]|, s[4:5]
	v_and_b32_e32 v6, 0x7fffffff, v1
	s_mov_b32 s4, 0
	s_mov_b32 s5, 0x7ff00000
	v_mov_b32_e32 v31, 0x40100000
	v_mov_b32_e32 v30, 0
	s_mov_b32 s9, 0x3ff921fb
	v_cndmask_b32_e32 v3, v6, v3, vcc
	v_cndmask_b32_e32 v2, v0, v2, vcc
	v_mul_f64 v[6:7], v[16:17], v[2:3]
	v_mul_f64 v[8:9], v[14:15], v[2:3]
	;; [unrolled: 1-line block ×3, first 2 shown]
	v_fma_f64 v[10:11], v[16:17], v[2:3], -v[6:7]
	v_fma_f64 v[26:27], v[14:15], v[2:3], -v[8:9]
	v_fma_f64 v[2:3], v[12:13], v[2:3], -v[24:25]
	v_add_f64 v[18:19], v[8:9], v[10:11]
	v_add_f64 v[20:21], v[18:19], -v[8:9]
	v_add_f64 v[28:29], v[6:7], v[18:19]
	v_add_f64 v[22:23], v[18:19], -v[20:21]
	v_add_f64 v[10:11], v[10:11], -v[20:21]
	v_add_f64 v[20:21], v[24:25], v[26:27]
	v_add_f64 v[6:7], v[28:29], -v[6:7]
	v_add_f64 v[8:9], v[8:9], -v[22:23]
	v_ldexp_f64 v[22:23], v[28:29], -2
	v_add_f64 v[32:33], v[20:21], -v[24:25]
	v_add_f64 v[6:7], v[18:19], -v[6:7]
	v_add_f64 v[8:9], v[10:11], v[8:9]
	v_fract_f64_e32 v[10:11], v[22:23]
	v_cmp_neq_f64_e64 vcc, |v[22:23]|, s[4:5]
	v_add_f64 v[26:27], v[26:27], -v[32:33]
	v_add_f64 v[18:19], v[20:21], v[8:9]
	v_ldexp_f64 v[10:11], v[10:11], 2
	v_add_f64 v[22:23], v[6:7], v[18:19]
	v_cndmask_b32_e32 v11, 0, v11, vcc
	v_cndmask_b32_e32 v10, 0, v10, vcc
	v_add_f64 v[34:35], v[18:19], -v[20:21]
	v_add_f64 v[28:29], v[22:23], v[10:11]
	v_add_f64 v[6:7], v[22:23], -v[6:7]
	v_add_f64 v[36:37], v[18:19], -v[34:35]
	;; [unrolled: 1-line block ×3, first 2 shown]
	v_cmp_gt_f64_e32 vcc, 0, v[28:29]
	v_add_f64 v[28:29], v[20:21], -v[32:33]
	v_add_f64 v[6:7], v[18:19], -v[6:7]
	;; [unrolled: 1-line block ×3, first 2 shown]
	v_cndmask_b32_e32 v31, 0, v31, vcc
	v_add_f64 v[10:11], v[10:11], v[30:31]
	v_add_f64 v[28:29], v[24:25], -v[28:29]
	v_add_f64 v[8:9], v[8:9], v[20:21]
	v_add_f64 v[38:39], v[22:23], v[10:11]
	;; [unrolled: 1-line block ×3, first 2 shown]
	v_cvt_i32_f64_e32 v33, v[38:39]
	v_add_f64 v[8:9], v[26:27], v[8:9]
	v_cvt_f64_i32_e32 v[31:32], v33
	v_add_f64 v[10:11], v[10:11], -v[31:32]
	v_add_f64 v[2:3], v[2:3], v[8:9]
	v_add_f64 v[20:21], v[22:23], v[10:11]
	;; [unrolled: 1-line block ×3, first 2 shown]
	v_add_f64 v[8:9], v[20:21], -v[10:11]
	v_cmp_le_f64_e32 vcc, 0.5, v[20:21]
	v_add_f64 v[6:7], v[22:23], -v[8:9]
	v_mov_b32_e32 v8, 0x3ff00000
	v_cndmask_b32_e32 v31, 0, v8, vcc
	v_addc_co_u32_e64 v36, s[4:5], 0, v33, vcc
	s_mov_b32 s4, 0x33145c07
	s_mov_b32 s5, 0x3c91a626
	v_add_f64 v[2:3], v[2:3], v[6:7]
	v_add_f64 v[6:7], v[20:21], -v[30:31]
	v_add_f64 v[8:9], v[6:7], v[2:3]
	v_mul_f64 v[10:11], v[8:9], s[8:9]
	v_add_f64 v[6:7], v[8:9], -v[6:7]
	v_fma_f64 v[18:19], v[8:9], s[8:9], -v[10:11]
	v_add_f64 v[2:3], v[2:3], -v[6:7]
	v_fma_f64 v[6:7], v[8:9], s[4:5], v[18:19]
	v_fma_f64 v[6:7], v[2:3], s[8:9], v[6:7]
	v_add_f64 v[2:3], v[10:11], v[6:7]
	v_add_f64 v[8:9], v[2:3], -v[10:11]
	v_add_f64 v[6:7], v[6:7], -v[8:9]
	s_andn2_saveexec_b64 s[4:5], s[14:15]
	s_cbranch_execz .LBB8_128
	s_branch .LBB8_127
.LBB8_97:
	s_andn2_saveexec_b64 s[10:11], s[10:11]
	s_cbranch_execz .LBB8_37
.LBB8_98:
	v_mov_b32_e32 v2, 22
	v_cmp_gt_i16_sdwa s[6:7], v3, v2 src0_sel:BYTE_0 src1_sel:DWORD
	s_mov_b64 s[14:15], s[8:9]
                                        ; implicit-def: $vgpr4_vgpr5
	s_and_saveexec_b64 s[16:17], s[6:7]
	s_xor_b64 s[6:7], exec, s[16:17]
	s_cbranch_execz .LBB8_116
; %bb.99:
	v_mov_b32_e32 v2, 23
	v_cmp_gt_i16_sdwa s[14:15], v3, v2 src0_sel:BYTE_0 src1_sel:DWORD
                                        ; implicit-def: $vgpr4_vgpr5
	s_and_saveexec_b64 s[16:17], s[14:15]
	s_xor_b64 s[14:15], exec, s[16:17]
	s_cbranch_execz .LBB8_113
; %bb.100:
	v_mov_b32_e32 v2, 24
	v_cmp_gt_i16_sdwa s[16:17], v3, v2 src0_sel:BYTE_0 src1_sel:DWORD
                                        ; implicit-def: $vgpr4_vgpr5
	s_and_saveexec_b64 s[18:19], s[16:17]
	s_xor_b64 s[16:17], exec, s[18:19]
	s_cbranch_execz .LBB8_110
; %bb.101:
	flat_load_ubyte v2, v[0:1]
	s_movk_i32 s18, 0x7f
	s_waitcnt vmcnt(0) lgkmcnt(0)
	v_cmp_lt_i16_e32 vcc, s18, v2
	s_mov_b64 s[18:19], 0
	s_and_saveexec_b64 s[20:21], vcc
	s_xor_b64 s[20:21], exec, s[20:21]
	s_cbranch_execz .LBB8_105
; %bb.102:
	s_movk_i32 s18, 0x80
	v_cmp_eq_u16_e32 vcc, s18, v2
	s_mov_b64 s[18:19], -1
	s_and_saveexec_b64 s[22:23], vcc
; %bb.103:
	s_xor_b64 s[18:19], exec, -1
; %bb.104:
	s_or_b64 exec, exec, s[22:23]
	s_and_b64 s[18:19], s[18:19], exec
.LBB8_105:
	s_or_saveexec_b64 s[20:21], s[20:21]
	v_bfrev_b32_e32 v4, 4
	v_mov_b32_e32 v5, 0x7ff80000
	s_xor_b64 exec, exec, s[20:21]
; %bb.106:
	v_cmp_ne_u16_e32 vcc, 0, v2
	v_mov_b32_e32 v4, 0
	s_andn2_b64 s[18:19], s[18:19], exec
	s_and_b64 s[22:23], vcc, exec
	v_mov_b32_e32 v5, 0
	s_or_b64 s[18:19], s[18:19], s[22:23]
; %bb.107:
	s_or_b64 exec, exec, s[20:21]
	s_and_saveexec_b64 s[20:21], s[18:19]
	s_cbranch_execz .LBB8_109
; %bb.108:
	v_lshlrev_b32_e32 v3, 24, v2
	v_and_b32_e32 v2, 0xffff, v2
	v_and_b32_e32 v4, 3, v2
	v_ffbh_u32_e32 v6, v4
	v_min_u32_e32 v6, 32, v6
	v_subrev_u32_e32 v7, 29, v6
	v_bfe_u32 v5, v2, 2, 5
	v_lshlrev_b32_e32 v2, v7, v2
	v_sub_u32_e32 v6, 30, v6
	v_and_b32_e32 v2, 3, v2
	v_cmp_eq_u32_e32 vcc, 0, v5
	v_cndmask_b32_e32 v5, v5, v6, vcc
	v_cndmask_b32_e32 v2, v4, v2, vcc
	v_mov_b32_e32 v4, 0x37800000
	v_lshlrev_b32_e32 v2, 21, v2
	v_and_b32_e32 v3, 0x80000000, v3
	v_lshl_add_u32 v4, v5, 23, v4
	v_or3_b32 v2, v3, v4, v2
	v_cvt_f64_f32_e32 v[4:5], v2
.LBB8_109:
	s_or_b64 exec, exec, s[20:21]
.LBB8_110:
	s_andn2_saveexec_b64 s[16:17], s[16:17]
	s_cbranch_execz .LBB8_112
; %bb.111:
	flat_load_ubyte v2, v[0:1]
	s_mov_b32 s18, 0x7f800000
	s_waitcnt vmcnt(0) lgkmcnt(0)
	v_lshlrev_b32_e32 v2, 24, v2
	v_and_b32_e32 v3, 0x7f000000, v2
	v_ffbh_u32_e32 v4, v3
	v_min_u32_e32 v4, 32, v4
	v_sub_u32_e64 v4, v4, 4 clamp
	v_lshlrev_b32_e32 v6, v4, v3
	v_lshlrev_b32_e32 v4, 23, v4
	v_lshrrev_b32_e32 v6, 4, v6
	v_add_u32_e32 v5, 0x1000000, v3
	v_sub_u32_e32 v4, v6, v4
	v_ashrrev_i32_e32 v5, 8, v5
	v_add_u32_e32 v4, 0x3c000000, v4
	v_and_or_b32 v4, v5, s18, v4
	v_cmp_ne_u32_e32 vcc, 0, v3
	v_cndmask_b32_e32 v3, 0, v4, vcc
	s_brev_b32 s18, 1
	v_and_or_b32 v2, v2, s18, v3
	v_cvt_f64_f32_e32 v[4:5], v2
.LBB8_112:
	s_or_b64 exec, exec, s[16:17]
.LBB8_113:
	s_andn2_saveexec_b64 s[14:15], s[14:15]
	s_cbranch_execz .LBB8_115
; %bb.114:
	flat_load_ubyte v2, v[0:1]
	s_movk_i32 s16, 0x7f00
	s_brev_b32 s17, 16
	s_waitcnt vmcnt(0) lgkmcnt(0)
	v_lshlrev_b16_e32 v3, 8, v2
	v_lshlrev_b32_e32 v2, 25, v2
	v_lshrrev_b32_e32 v4, 4, v2
	v_and_or_b32 v5, v3, s16, 0.5
	v_or_b32_e32 v4, 0x70000000, v4
	v_add_f32_e32 v5, -0.5, v5
	v_mul_f32_e32 v4, 0x7800000, v4
	v_cmp_gt_u32_e32 vcc, s17, v2
	v_bfe_i32 v3, v3, 0, 16
	v_cndmask_b32_e32 v2, v4, v5, vcc
	s_brev_b32 s16, 1
	v_and_or_b32 v2, v3, s16, v2
	v_cvt_f64_f32_e32 v[4:5], v2
.LBB8_115:
	s_or_b64 exec, exec, s[14:15]
	s_or_b64 s[14:15], s[8:9], exec
                                        ; implicit-def: $vgpr3
.LBB8_116:
	s_or_saveexec_b64 s[6:7], s[6:7]
	s_mov_b64 s[18:19], 0
	s_mov_b64 s[16:17], s[12:13]
	s_xor_b64 exec, exec, s[6:7]
	s_cbranch_execz .LBB8_124
; %bb.117:
	v_mov_b32_e32 v2, 14
	v_cmp_gt_i16_sdwa s[20:21], v3, v2 src0_sel:BYTE_0 src1_sel:DWORD
	s_mov_b64 s[16:17], s[12:13]
	s_mov_b64 s[18:19], s[14:15]
                                        ; implicit-def: $vgpr4_vgpr5
	s_and_saveexec_b64 s[22:23], s[20:21]
	s_xor_b64 s[20:21], exec, s[22:23]
	s_cbranch_execz .LBB8_121
; %bb.118:
	v_mov_b32_e32 v2, 15
	v_cmp_eq_u16_sdwa s[24:25], v3, v2 src0_sel:BYTE_0 src1_sel:DWORD
	s_mov_b64 s[16:17], -1
	s_mov_b64 s[18:19], s[14:15]
                                        ; implicit-def: $vgpr4_vgpr5
	s_and_saveexec_b64 s[22:23], s[24:25]
	s_cbranch_execz .LBB8_120
; %bb.119:
	flat_load_ushort v2, v[0:1]
	s_or_b64 s[18:19], s[14:15], exec
	s_xor_b64 s[16:17], exec, -1
	s_waitcnt vmcnt(0) lgkmcnt(0)
	v_lshlrev_b32_e32 v2, 16, v2
	v_cvt_f64_f32_e32 v[4:5], v2
.LBB8_120:
	s_or_b64 exec, exec, s[22:23]
	s_andn2_b64 s[22:23], s[14:15], exec
	s_and_b64 s[18:19], s[18:19], exec
	s_or_b64 s[18:19], s[22:23], s[18:19]
	s_andn2_b64 s[22:23], s[12:13], exec
	s_and_b64 s[16:17], s[16:17], exec
	s_or_b64 s[16:17], s[22:23], s[16:17]
                                        ; implicit-def: $vgpr3
.LBB8_121:
	s_or_saveexec_b64 s[20:21], s[20:21]
	s_mov_b64 s[22:23], 0
	s_xor_b64 exec, exec, s[20:21]
; %bb.122:
	v_mov_b32_e32 v2, 11
	v_cmp_ne_u16_sdwa s[24:25], v3, v2 src0_sel:BYTE_0 src1_sel:DWORD
	s_andn2_b64 s[16:17], s[16:17], exec
	s_and_b64 s[24:25], s[24:25], exec
	s_mov_b64 s[22:23], exec
	s_or_b64 s[16:17], s[16:17], s[24:25]
; %bb.123:
	s_or_b64 exec, exec, s[20:21]
	s_andn2_b64 s[14:15], s[14:15], exec
	s_and_b64 s[18:19], s[18:19], exec
	s_andn2_b64 s[20:21], s[12:13], exec
	s_and_b64 s[16:17], s[16:17], exec
	s_or_b64 s[14:15], s[14:15], s[18:19]
	s_and_b64 s[18:19], s[22:23], exec
	s_or_b64 s[16:17], s[20:21], s[16:17]
.LBB8_124:
	s_or_b64 exec, exec, s[6:7]
	s_andn2_b64 s[6:7], s[8:9], exec
	s_and_b64 s[8:9], s[14:15], exec
	s_andn2_b64 s[12:13], s[12:13], exec
	s_and_b64 s[14:15], s[16:17], exec
	s_or_b64 s[8:9], s[6:7], s[8:9]
	s_and_b64 s[6:7], s[18:19], exec
	s_or_b64 s[12:13], s[12:13], s[14:15]
	s_or_b64 exec, exec, s[10:11]
	s_and_saveexec_b64 s[10:11], s[12:13]
	s_cbranch_execz .LBB8_38
.LBB8_125:
	s_trap 2
	; divergent unreachable
	s_andn2_b64 s[6:7], s[6:7], exec
	s_or_b64 exec, exec, s[10:11]
	s_and_saveexec_b64 s[10:11], s[6:7]
	s_xor_b64 s[6:7], exec, s[10:11]
	s_cbranch_execnz .LBB8_39
	s_branch .LBB8_40
.LBB8_126:
	s_andn2_saveexec_b64 s[4:5], s[14:15]
	s_cbranch_execz .LBB8_128
.LBB8_127:
	s_mov_b32 s8, 0x6dc9c883
	s_mov_b32 s9, 0x3fe45f30
	v_mul_f64 v[2:3], |v[0:1]|, s[8:9]
	s_mov_b32 s8, 0x54442d18
	s_mov_b32 s9, 0xbff921fb
	;; [unrolled: 1-line block ×4, first 2 shown]
	v_rndne_f64_e32 v[8:9], v[2:3]
	v_fma_f64 v[2:3], v[8:9], s[8:9], |v[0:1]|
	v_mul_f64 v[6:7], v[8:9], s[14:15]
	s_mov_b32 s8, 0x252049c0
	s_mov_b32 s9, 0xb97b839a
	v_cvt_i32_f64_e32 v36, v[8:9]
	v_fma_f64 v[20:21], v[8:9], s[14:15], v[2:3]
	v_add_f64 v[10:11], v[2:3], v[6:7]
	s_mov_b32 s15, 0x3c91a626
	v_add_f64 v[18:19], v[2:3], -v[10:11]
	v_add_f64 v[10:11], v[10:11], -v[20:21]
	v_add_f64 v[2:3], v[18:19], v[6:7]
	v_fma_f64 v[6:7], v[8:9], s[14:15], v[6:7]
	v_add_f64 v[2:3], v[10:11], v[2:3]
	v_add_f64 v[2:3], v[2:3], -v[6:7]
	v_fma_f64 v[6:7], v[8:9], s[8:9], v[2:3]
	v_add_f64 v[2:3], v[20:21], v[6:7]
	v_add_f64 v[10:11], v[2:3], -v[20:21]
	v_add_f64 v[6:7], v[6:7], -v[10:11]
.LBB8_128:
	s_or_b64 exec, exec, s[4:5]
                                        ; implicit-def: $vgpr37
                                        ; implicit-def: $vgpr8_vgpr9
                                        ; implicit-def: $vgpr10_vgpr11
	s_and_saveexec_b64 s[4:5], s[6:7]
	s_xor_b64 s[6:7], exec, s[4:5]
	s_cbranch_execz .LBB8_130
; %bb.129:
	s_mov_b32 s4, 0
	s_mov_b32 s5, 0x7b000000
	s_movk_i32 s8, 0xff80
	v_ldexp_f64 v[8:9], |v[0:1]|, s8
	v_cmp_ge_f64_e64 vcc, |v[0:1]|, s[4:5]
	v_and_b32_e32 v10, 0x7fffffff, v1
	s_mov_b32 s4, 0
	s_mov_b32 s5, 0x7ff00000
	v_mov_b32_e32 v31, 0x40100000
	v_mov_b32_e32 v30, 0
	s_mov_b32 s8, 0x33145c07
	s_mov_b32 s9, 0x3c91a626
	v_cndmask_b32_e32 v9, v10, v9, vcc
	v_cndmask_b32_e32 v8, v0, v8, vcc
	v_mul_f64 v[10:11], v[16:17], v[8:9]
	v_mul_f64 v[18:19], v[14:15], v[8:9]
	v_mul_f64 v[26:27], v[12:13], v[8:9]
	v_fma_f64 v[16:17], v[16:17], v[8:9], -v[10:11]
	v_fma_f64 v[14:15], v[14:15], v[8:9], -v[18:19]
	;; [unrolled: 1-line block ×3, first 2 shown]
	v_add_f64 v[20:21], v[18:19], v[16:17]
	v_add_f64 v[22:23], v[20:21], -v[18:19]
	v_add_f64 v[28:29], v[10:11], v[20:21]
	v_add_f64 v[24:25], v[20:21], -v[22:23]
	v_add_f64 v[16:17], v[16:17], -v[22:23]
	v_add_f64 v[22:23], v[26:27], v[14:15]
	v_add_f64 v[10:11], v[28:29], -v[10:11]
	v_add_f64 v[18:19], v[18:19], -v[24:25]
	v_ldexp_f64 v[24:25], v[28:29], -2
	v_add_f64 v[32:33], v[22:23], -v[26:27]
	v_add_f64 v[10:11], v[20:21], -v[10:11]
	v_add_f64 v[16:17], v[16:17], v[18:19]
	v_fract_f64_e32 v[18:19], v[24:25]
	v_cmp_neq_f64_e64 vcc, |v[24:25]|, s[4:5]
	v_add_f64 v[14:15], v[14:15], -v[32:33]
	v_add_f64 v[20:21], v[22:23], v[16:17]
	v_ldexp_f64 v[18:19], v[18:19], 2
	v_add_f64 v[24:25], v[10:11], v[20:21]
	v_cndmask_b32_e32 v19, 0, v19, vcc
	v_cndmask_b32_e32 v18, 0, v18, vcc
	v_add_f64 v[34:35], v[20:21], -v[22:23]
	v_add_f64 v[28:29], v[24:25], v[18:19]
	v_add_f64 v[10:11], v[24:25], -v[10:11]
	v_add_f64 v[37:38], v[20:21], -v[34:35]
	;; [unrolled: 1-line block ×3, first 2 shown]
	v_cmp_gt_f64_e32 vcc, 0, v[28:29]
	v_add_f64 v[28:29], v[22:23], -v[32:33]
	v_add_f64 v[10:11], v[20:21], -v[10:11]
	;; [unrolled: 1-line block ×3, first 2 shown]
	v_cndmask_b32_e32 v31, 0, v31, vcc
	v_add_f64 v[18:19], v[18:19], v[30:31]
	v_add_f64 v[28:29], v[26:27], -v[28:29]
	v_add_f64 v[16:17], v[16:17], v[22:23]
	v_add_f64 v[48:49], v[24:25], v[18:19]
	;; [unrolled: 1-line block ×3, first 2 shown]
	v_cvt_i32_f64_e32 v33, v[48:49]
	v_add_f64 v[12:13], v[14:15], v[16:17]
	v_cvt_f64_i32_e32 v[31:32], v33
	v_add_f64 v[18:19], v[18:19], -v[31:32]
	v_add_f64 v[8:9], v[8:9], v[12:13]
	v_add_f64 v[14:15], v[24:25], v[18:19]
	;; [unrolled: 1-line block ×3, first 2 shown]
	v_add_f64 v[12:13], v[14:15], -v[18:19]
	v_cmp_le_f64_e32 vcc, 0.5, v[14:15]
	v_add_f64 v[10:11], v[24:25], -v[12:13]
	v_mov_b32_e32 v12, 0x3ff00000
	v_cndmask_b32_e32 v31, 0, v12, vcc
	v_addc_co_u32_e64 v37, s[4:5], 0, v33, vcc
	s_mov_b32 s4, 0x54442d18
	s_mov_b32 s5, 0x3ff921fb
	v_add_f64 v[8:9], v[8:9], v[10:11]
	v_add_f64 v[10:11], v[14:15], -v[30:31]
	v_add_f64 v[12:13], v[10:11], v[8:9]
	v_mul_f64 v[14:15], v[12:13], s[4:5]
	v_add_f64 v[10:11], v[12:13], -v[10:11]
	v_fma_f64 v[16:17], v[12:13], s[4:5], -v[14:15]
	v_add_f64 v[8:9], v[8:9], -v[10:11]
	v_fma_f64 v[10:11], v[12:13], s[8:9], v[16:17]
	v_fma_f64 v[10:11], v[8:9], s[4:5], v[10:11]
	v_add_f64 v[8:9], v[14:15], v[10:11]
	v_add_f64 v[12:13], v[8:9], -v[14:15]
	v_add_f64 v[10:11], v[10:11], -v[12:13]
	s_andn2_saveexec_b64 s[4:5], s[6:7]
	s_cbranch_execnz .LBB8_131
	s_branch .LBB8_132
.LBB8_130:
	s_andn2_saveexec_b64 s[4:5], s[6:7]
	s_cbranch_execz .LBB8_132
.LBB8_131:
	s_mov_b32 s6, 0x6dc9c883
	s_mov_b32 s7, 0x3fe45f30
	v_mul_f64 v[8:9], |v[0:1]|, s[6:7]
	s_mov_b32 s6, 0x54442d18
	s_mov_b32 s7, 0xbff921fb
	;; [unrolled: 1-line block ×4, first 2 shown]
	v_rndne_f64_e32 v[12:13], v[8:9]
	v_fma_f64 v[8:9], v[12:13], s[6:7], |v[0:1]|
	v_mul_f64 v[10:11], v[12:13], s[8:9]
	s_mov_b32 s6, 0x252049c0
	s_mov_b32 s7, 0xb97b839a
	v_cvt_i32_f64_e32 v37, v[12:13]
	v_fma_f64 v[18:19], v[12:13], s[8:9], v[8:9]
	v_add_f64 v[14:15], v[8:9], v[10:11]
	s_mov_b32 s9, 0x3c91a626
	v_add_f64 v[16:17], v[8:9], -v[14:15]
	v_add_f64 v[14:15], v[14:15], -v[18:19]
	v_add_f64 v[8:9], v[16:17], v[10:11]
	v_fma_f64 v[10:11], v[12:13], s[8:9], v[10:11]
	v_add_f64 v[8:9], v[14:15], v[8:9]
	v_add_f64 v[8:9], v[8:9], -v[10:11]
	v_fma_f64 v[10:11], v[12:13], s[6:7], v[8:9]
	v_add_f64 v[8:9], v[18:19], v[10:11]
	v_add_f64 v[14:15], v[8:9], -v[18:19]
	v_add_f64 v[10:11], v[10:11], -v[14:15]
.LBB8_132:
	s_or_b64 exec, exec, s[4:5]
	v_mul_f64 v[16:17], v[4:5], v[4:5]
	s_mov_b32 s6, 0
	s_mov_b32 s7, 0x40390000
	v_mov_b32_e32 v24, 0x983b6b27
	v_mov_b32_e32 v25, 0x3f4a1d30
	;; [unrolled: 1-line block ×4, first 2 shown]
	s_mov_b32 s8, 0xb35dd1cf
	v_div_scale_f64 v[14:15], s[4:5], v[16:17], v[16:17], s[6:7]
	s_mov_b32 s22, 0xab5454e3
	s_mov_b32 s9, 0x3fb534b0
	;; [unrolled: 1-line block ×14, first 2 shown]
	v_rcp_f64_e32 v[12:13], v[14:15]
	s_mov_b32 s44, 0xea1b21a1
	s_mov_b32 s43, 0x40217e8c
	;; [unrolled: 1-line block ×8, first 2 shown]
	v_mov_b32_e32 v49, s5
	s_mov_b32 s21, 0xbda907db
	v_mov_b32_e32 v48, s4
	s_mov_b32 s18, 0xa17f65f6
	s_mov_b32 s19, 0xbe927e4f
	;; [unrolled: 1-line block ×4, first 2 shown]
	v_fma_f64 v[18:19], -v[14:15], v[12:13], 1.0
	s_mov_b32 s16, 0x16c16967
	s_mov_b32 s17, 0xbf56c16c
	v_mul_f64 v[46:47], v[10:11], 0.5
	s_mov_b32 s4, 0
	s_brev_b32 s5, 8
	v_cmp_gt_f64_e64 s[4:5], s[4:5], v[4:5]
	v_fma_f64 v[12:13], v[12:13], v[18:19], v[12:13]
	v_div_scale_f64 v[18:19], vcc, s[6:7], v[16:17], s[6:7]
	v_fma_f64 v[20:21], -v[14:15], v[12:13], 1.0
	v_fma_f64 v[20:21], v[12:13], v[20:21], v[12:13]
	v_mul_f64 v[12:13], v[2:3], v[2:3]
	v_mul_f64 v[22:23], v[18:19], v[20:21]
	v_fma_f64 v[18:19], -v[14:15], v[22:23], v[18:19]
	v_mul_f64 v[14:15], v[8:9], v[8:9]
	v_div_fmas_f64 v[18:19], v[18:19], v[20:21], v[22:23]
	v_mul_f64 v[56:57], v[14:15], v[14:15]
	v_div_fixup_f64 v[22:23], v[18:19], v[16:17], s[6:7]
	v_mov_b32_e32 v16, 0x38a5384a
	v_mov_b32_e32 v17, 0xbf874742
	s_mov_b32 s6, 0xa59425a1
	s_mov_b32 s7, 0x40153684
	v_fma_f64 v[18:19], v[22:23], 0, v[26:27]
	v_fma_f64 v[20:21], v[22:23], 0, v[24:25]
	;; [unrolled: 1-line block ×3, first 2 shown]
	v_mov_b32_e32 v24, 0x413c25ac
	v_mov_b32_e32 v25, 0x40501457
	v_fma_f64 v[24:25], v[22:23], 0, v[24:25]
	v_fma_f64 v[18:19], v[22:23], v[18:19], s[22:23]
	;; [unrolled: 1-line block ×4, first 2 shown]
	s_mov_b32 s22, 0xb1759c7f
	s_mov_b32 s23, 0x408ac370
	v_fma_f64 v[24:25], v[22:23], v[24:25], s[22:23]
	s_mov_b32 s8, 0xf50e2c0c
	s_mov_b32 s9, 0xc0338dcf
	v_fma_f64 v[18:19], v[22:23], v[18:19], s[26:27]
	v_fma_f64 v[20:21], v[22:23], v[20:21], s[24:25]
	v_fma_f64 v[16:17], v[22:23], v[16:17], s[8:9]
	s_mov_b32 s22, 0xbd748cb5
	s_mov_b32 s23, 0x40ae54cd
	v_fma_f64 v[24:25], v[22:23], v[24:25], s[22:23]
	s_mov_b32 s8, 0x5a6de8c4
	s_mov_b32 s9, 0xc0574d2f
	v_fma_f64 v[18:19], v[22:23], v[18:19], s[40:41]
	v_fma_f64 v[20:21], v[22:23], v[20:21], s[28:29]
	v_fma_f64 v[16:17], v[22:23], v[16:17], s[8:9]
	;; [unrolled: 8-line block ×4, first 2 shown]
	s_mov_b32 s8, 0xc7319e82
	s_mov_b32 s9, 0x40a01c2f
	v_fma_f64 v[24:25], v[22:23], v[24:25], s[8:9]
	s_mov_b32 s6, 0x55b218cd
	s_mov_b32 s8, 0x6280a54
	v_fma_f64 v[16:17], v[22:23], v[18:19], 1.0
	v_fma_f64 v[18:19], v[22:23], v[20:21], 1.0
	s_mov_b32 s7, 0xc049b48c
	s_mov_b32 s9, 0x406e402f
	v_fma_f64 v[26:27], v[22:23], v[26:27], s[6:7]
	v_fma_f64 v[20:21], v[22:23], v[24:25], s[8:9]
	s_mov_b32 s6, 0xd1b9a1dd
	s_mov_b32 s22, 0
	;; [unrolled: 1-line block ×3, first 2 shown]
	v_div_scale_f64 v[38:39], s[8:9], v[16:17], v[16:17], v[18:19]
	s_mov_b32 s23, 0x40140000
	v_fma_f64 v[22:23], v[22:23], v[26:27], s[6:7]
	v_div_scale_f64 v[32:33], s[6:7], v[4:5], v[4:5], s[22:23]
	v_fma_f64 v[24:25], v[14:15], s[20:21], v[48:49]
	v_mul_f64 v[26:27], v[14:15], 0.5
	s_mov_b32 s6, 0xb42fdfa7
	s_mov_b32 s7, 0xbe5ae600
	;; [unrolled: 1-line block ×3, first 2 shown]
	v_div_scale_f64 v[34:35], s[8:9], v[20:21], v[20:21], v[22:23]
	v_mov_b32_e32 v53, s7
	v_fma_f64 v[30:31], v[14:15], v[24:25], s[18:19]
	v_add_f64 v[24:25], -v[26:27], 1.0
	v_rcp_f64_e32 v[28:29], v[38:39]
	s_mov_b32 s41, 0x3de5e0b2
	v_mov_b32_e32 v52, s6
	v_fma_f64 v[40:41], v[14:15], s[40:41], v[52:53]
	v_rcp_f64_e32 v[50:51], v[32:33]
	s_mov_b32 s42, 0x796cde01
	v_fma_f64 v[30:31], v[14:15], v[30:31], s[14:15]
	v_add_f64 v[42:43], -v[24:25], 1.0
	s_mov_b32 s43, 0x3ec71de3
	s_mov_b32 s28, 0x19e83e5c
	;; [unrolled: 1-line block ×3, first 2 shown]
	v_rcp_f64_e32 v[54:55], v[34:35]
	v_fma_f64 v[40:41], v[14:15], v[40:41], s[42:43]
	s_mov_b32 s24, 0x55555555
	v_fma_f64 v[30:31], v[14:15], v[30:31], s[16:17]
	v_add_f64 v[26:27], v[42:43], -v[26:27]
	v_fma_f64 v[44:45], -v[38:39], v[28:29], 1.0
	s_mov_b32 s25, 0x3fa55555
	s_mov_b32 s26, 0x11110bb3
	;; [unrolled: 1-line block ×3, first 2 shown]
	v_fma_f64 v[42:43], -v[32:33], v[50:51], 1.0
	v_fma_f64 v[40:41], v[14:15], v[40:41], s[28:29]
	v_fma_f64 v[58:59], v[14:15], v[30:31], s[24:25]
	v_fma_f64 v[26:27], v[8:9], -v[10:11], v[26:27]
	v_fma_f64 v[44:45], v[28:29], v[44:45], v[28:29]
	v_mul_f64 v[30:31], v[8:9], -v[14:15]
	v_fma_f64 v[52:53], v[12:13], s[40:41], v[52:53]
	v_fma_f64 v[28:29], -v[34:35], v[54:55], 1.0
	v_fma_f64 v[50:51], v[50:51], v[42:43], v[50:51]
	v_div_scale_f64 v[42:43], vcc, v[18:19], v[16:17], v[18:19]
	v_fma_f64 v[40:41], v[14:15], v[40:41], s[26:27]
	v_fma_f64 v[60:61], -v[38:39], v[44:45], 1.0
	v_fma_f64 v[48:49], v[12:13], s[20:21], v[48:49]
	v_fma_f64 v[52:53], v[12:13], v[52:53], s[42:43]
	;; [unrolled: 1-line block ×4, first 2 shown]
	v_fma_f64 v[26:27], -v[32:33], v[50:51], 1.0
	v_div_scale_f64 v[58:59], s[6:7], s[22:23], v[4:5], s[22:23]
	v_fma_f64 v[44:45], v[44:45], v[60:61], v[44:45]
	v_fma_f64 v[40:41], v[30:31], v[40:41], v[46:47]
	v_div_scale_f64 v[46:47], s[8:9], v[22:23], v[20:21], v[22:23]
	v_fma_f64 v[56:57], -v[34:35], v[54:55], 1.0
	v_fma_f64 v[50:51], v[50:51], v[26:27], v[50:51]
	v_mov_b32_e32 v26, 0x100
	v_cndmask_b32_e64 v26, 0, v26, s[4:5]
	v_mul_f64 v[60:61], v[42:43], v[44:45]
	v_ldexp_f64 v[26:27], v[4:5], v26
	v_fma_f64 v[10:11], v[14:15], v[40:41], -v[10:11]
	v_fma_f64 v[52:53], v[12:13], v[52:53], s[28:29]
	v_fma_f64 v[54:55], v[54:55], v[56:57], v[54:55]
	;; [unrolled: 1-line block ×3, first 2 shown]
	v_mul_f64 v[40:41], v[58:59], v[50:51]
	v_mul_f64 v[56:57], v[6:7], 0.5
	v_fma_f64 v[38:39], -v[38:39], v[60:61], v[42:43]
	v_rsq_f64_e32 v[14:15], v[26:27]
	v_mul_f64 v[42:43], v[12:13], 0.5
	v_fma_f64 v[52:53], v[12:13], v[52:53], s[26:27]
	s_mov_b32 s19, 0xbfc55555
	v_fma_f64 v[48:49], v[12:13], v[48:49], s[14:15]
	v_fma_f64 v[32:33], -v[32:33], v[40:41], v[58:59]
	s_mov_b32 s18, s24
	v_div_fmas_f64 v[38:39], v[38:39], v[44:45], v[60:61]
	v_mul_f64 v[44:45], v[46:47], v[54:55]
	v_add_f64 v[58:59], -v[42:43], 1.0
	s_mov_b64 vcc, s[6:7]
	v_fma_f64 v[10:11], v[30:31], s[18:19], v[10:11]
	v_fma_f64 v[48:49], v[12:13], v[48:49], s[16:17]
	v_div_fmas_f64 v[32:33], v[32:33], v[50:51], v[40:41]
	s_mov_b64 vcc, s[8:9]
	v_add_f64 v[24:25], v[24:25], v[28:29]
	v_fma_f64 v[34:35], -v[34:35], v[44:45], v[46:47]
	v_mul_f64 v[50:51], v[26:27], v[14:15]
	v_mul_f64 v[14:15], v[14:15], 0.5
	v_add_f64 v[40:41], -v[58:59], 1.0
	v_and_b32_e32 v46, 1, v36
	v_fma_f64 v[48:49], v[12:13], v[48:49], s[24:25]
	v_add_f64 v[8:9], v[8:9], -v[10:11]
	s_movk_i32 s6, 0x1f8
	v_div_fmas_f64 v[34:35], v[34:35], v[54:55], v[44:45]
	v_mul_f64 v[54:55], v[2:3], -v[12:13]
	v_fma_f64 v[44:45], -v[14:15], v[50:51], 0.5
	v_add_f64 v[40:41], v[40:41], -v[42:43]
	v_and_b32_e32 v42, 1, v37
	v_lshlrev_b32_e32 v43, 30, v37
	v_div_fixup_f64 v[4:5], v[32:33], v[4:5], s[22:23]
	v_cmp_class_f64_e64 s[6:7], v[0:1], s6
	v_cmp_eq_u32_e32 vcc, 0, v42
	v_fma_f64 v[52:53], v[54:55], v[52:53], v[56:57]
	v_fma_f64 v[50:51], v[50:51], v[44:45], v[50:51]
	v_fma_f64 v[40:41], v[2:3], -v[6:7], v[40:41]
	v_lshlrev_b32_e32 v56, 30, v36
	v_mul_f64 v[36:37], v[12:13], v[12:13]
	v_mov_b32_e32 v47, 0x7ff80000
	v_cndmask_b32_e32 v8, v8, v24, vcc
	v_div_fixup_f64 v[10:11], v[34:35], v[20:21], v[22:23]
	v_fma_f64 v[6:7], v[12:13], v[52:53], -v[6:7]
	v_fma_f64 v[12:13], v[14:15], v[44:45], v[14:15]
	v_fma_f64 v[14:15], -v[50:51], v[50:51], v[26:27]
	v_xor_b32_e32 v53, v56, v1
	v_fma_f64 v[30:31], v[36:37], v[48:49], v[40:41]
	v_and_b32_e32 v52, 0x80000000, v43
	v_and_b32_e32 v22, 0x80000000, v53
	v_fma_f64 v[6:7], v[54:55], s[18:19], v[6:7]
	v_fma_f64 v[14:15], v[14:15], v[12:13], v[50:51]
	v_add_f64 v[20:21], v[58:59], v[30:31]
	v_add_f64 v[0:1], v[2:3], -v[6:7]
	v_mul_f64 v[2:3], v[4:5], v[10:11]
	v_xor_b32_e32 v6, 0x80000000, v9
	v_cndmask_b32_e32 v7, v6, v25, vcc
	v_xor_b32_e32 v7, v7, v52
	v_fma_f64 v[4:5], -v[14:15], v[14:15], v[26:27]
	v_cndmask_b32_e64 v6, 0, v8, s[6:7]
	v_cndmask_b32_e64 v7, v47, v7, s[6:7]
	v_div_fixup_f64 v[8:9], v[38:39], v[16:17], v[18:19]
	v_mul_f64 v[2:3], v[2:3], v[6:7]
	v_cmp_eq_u32_e32 vcc, 0, v46
	v_cndmask_b32_e32 v6, v20, v0, vcc
	v_cndmask_b32_e32 v0, v21, v1, vcc
	v_xor_b32_e32 v7, v0, v22
	v_fma_f64 v[0:1], v[4:5], v[12:13], v[14:15]
	v_cndmask_b32_e64 v4, 0, v6, s[6:7]
	v_cndmask_b32_e64 v5, v47, v7, s[6:7]
	v_fma_f64 v[2:3], v[8:9], v[4:5], v[2:3]
	v_mov_b32_e32 v4, 0xffffff80
	v_mov_b32_e32 v5, 0x260
	s_mov_b32 s6, 0x33d43651
	v_cndmask_b32_e64 v4, 0, v4, s[4:5]
	s_mov_b32 s7, 0x3fe98845
	v_ldexp_f64 v[0:1], v[0:1], v4
	v_cmp_class_f64_e32 vcc, v[26:27], v5
	v_mul_f64 v[2:3], v[2:3], s[6:7]
	v_cndmask_b32_e32 v1, v1, v27, vcc
	v_cndmask_b32_e32 v0, v0, v26, vcc
	v_div_scale_f64 v[4:5], s[4:5], v[0:1], v[0:1], v[2:3]
	v_div_scale_f64 v[10:11], vcc, v[2:3], v[0:1], v[2:3]
	v_rcp_f64_e32 v[6:7], v[4:5]
	v_fma_f64 v[8:9], -v[4:5], v[6:7], 1.0
	v_fma_f64 v[6:7], v[6:7], v[8:9], v[6:7]
	v_fma_f64 v[8:9], -v[4:5], v[6:7], 1.0
	v_fma_f64 v[6:7], v[6:7], v[8:9], v[6:7]
	v_mul_f64 v[8:9], v[10:11], v[6:7]
	v_fma_f64 v[4:5], -v[4:5], v[8:9], v[10:11]
	v_div_fmas_f64 v[4:5], v[4:5], v[6:7], v[8:9]
	v_div_fixup_f64 v[0:1], v[4:5], v[0:1], v[2:3]
.LBB8_133:
	s_or_b64 exec, exec, s[12:13]
.LBB8_134:
	s_or_b64 exec, exec, s[10:11]
	buffer_load_dword v61, off, s[0:3], s32 ; 4-byte Folded Reload
	buffer_load_dword v60, off, s[0:3], s32 offset:4 ; 4-byte Folded Reload
	buffer_load_dword v59, off, s[0:3], s32 offset:8 ; 4-byte Folded Reload
	;; [unrolled: 1-line block ×13, first 2 shown]
	s_waitcnt vmcnt(0) lgkmcnt(0)
	s_setpc_b64 s[30:31]
.Lfunc_end8:
	.size	_ZN2at6native6invokeIZZZNS0_12_GLOBAL__N_121bessel_y0_kernel_cudaERNS_18TensorIteratorBaseEENKUlvE_clEvENKUlvE_clEvEUldE_i15function_traitsIS7_EEENT1_11result_typeERKT_PrKPcPKT0_PKN3c1010ScalarTypeEi, .Lfunc_end8-_ZN2at6native6invokeIZZZNS0_12_GLOBAL__N_121bessel_y0_kernel_cudaERNS_18TensorIteratorBaseEENKUlvE_clEvENKUlvE_clEvEUldE_i15function_traitsIS7_EEENT1_11result_typeERKT_PrKPcPKT0_PKN3c1010ScalarTypeEi
                                        ; -- End function
	.set .L_ZN2at6native6invokeIZZZNS0_12_GLOBAL__N_121bessel_y0_kernel_cudaERNS_18TensorIteratorBaseEENKUlvE_clEvENKUlvE_clEvEUldE_i15function_traitsIS7_EEENT1_11result_typeERKT_PrKPcPKT0_PKN3c1010ScalarTypeEi.num_vgpr, 62
	.set .L_ZN2at6native6invokeIZZZNS0_12_GLOBAL__N_121bessel_y0_kernel_cudaERNS_18TensorIteratorBaseEENKUlvE_clEvENKUlvE_clEvEUldE_i15function_traitsIS7_EEENT1_11result_typeERKT_PrKPcPKT0_PKN3c1010ScalarTypeEi.num_agpr, 0
	.set .L_ZN2at6native6invokeIZZZNS0_12_GLOBAL__N_121bessel_y0_kernel_cudaERNS_18TensorIteratorBaseEENKUlvE_clEvENKUlvE_clEvEUldE_i15function_traitsIS7_EEENT1_11result_typeERKT_PrKPcPKT0_PKN3c1010ScalarTypeEi.numbered_sgpr, 58
	.set .L_ZN2at6native6invokeIZZZNS0_12_GLOBAL__N_121bessel_y0_kernel_cudaERNS_18TensorIteratorBaseEENKUlvE_clEvENKUlvE_clEvEUldE_i15function_traitsIS7_EEENT1_11result_typeERKT_PrKPcPKT0_PKN3c1010ScalarTypeEi.num_named_barrier, 0
	.set .L_ZN2at6native6invokeIZZZNS0_12_GLOBAL__N_121bessel_y0_kernel_cudaERNS_18TensorIteratorBaseEENKUlvE_clEvENKUlvE_clEvEUldE_i15function_traitsIS7_EEENT1_11result_typeERKT_PrKPcPKT0_PKN3c1010ScalarTypeEi.private_seg_size, 60
	.set .L_ZN2at6native6invokeIZZZNS0_12_GLOBAL__N_121bessel_y0_kernel_cudaERNS_18TensorIteratorBaseEENKUlvE_clEvENKUlvE_clEvEUldE_i15function_traitsIS7_EEENT1_11result_typeERKT_PrKPcPKT0_PKN3c1010ScalarTypeEi.uses_vcc, 1
	.set .L_ZN2at6native6invokeIZZZNS0_12_GLOBAL__N_121bessel_y0_kernel_cudaERNS_18TensorIteratorBaseEENKUlvE_clEvENKUlvE_clEvEUldE_i15function_traitsIS7_EEENT1_11result_typeERKT_PrKPcPKT0_PKN3c1010ScalarTypeEi.uses_flat_scratch, 0
	.set .L_ZN2at6native6invokeIZZZNS0_12_GLOBAL__N_121bessel_y0_kernel_cudaERNS_18TensorIteratorBaseEENKUlvE_clEvENKUlvE_clEvEUldE_i15function_traitsIS7_EEENT1_11result_typeERKT_PrKPcPKT0_PKN3c1010ScalarTypeEi.has_dyn_sized_stack, 0
	.set .L_ZN2at6native6invokeIZZZNS0_12_GLOBAL__N_121bessel_y0_kernel_cudaERNS_18TensorIteratorBaseEENKUlvE_clEvENKUlvE_clEvEUldE_i15function_traitsIS7_EEENT1_11result_typeERKT_PrKPcPKT0_PKN3c1010ScalarTypeEi.has_recursion, 0
	.set .L_ZN2at6native6invokeIZZZNS0_12_GLOBAL__N_121bessel_y0_kernel_cudaERNS_18TensorIteratorBaseEENKUlvE_clEvENKUlvE_clEvEUldE_i15function_traitsIS7_EEENT1_11result_typeERKT_PrKPcPKT0_PKN3c1010ScalarTypeEi.has_indirect_call, 0
	.section	.AMDGPU.csdata,"",@progbits
; Function info:
; codeLenInByte = 8180
; TotalNumSgprs: 62
; NumVgprs: 62
; ScratchSize: 60
; MemoryBound: 1
	.section	.text._ZN2at6native32elementwise_kernel_manual_unrollILi128ELi4EZNS0_15gpu_kernel_implIZZZNS0_12_GLOBAL__N_121bessel_y0_kernel_cudaERNS_18TensorIteratorBaseEENKUlvE_clEvENKUlvE_clEvEUldE_EEvS5_RKT_EUlibE_EEviT1_,"axG",@progbits,_ZN2at6native32elementwise_kernel_manual_unrollILi128ELi4EZNS0_15gpu_kernel_implIZZZNS0_12_GLOBAL__N_121bessel_y0_kernel_cudaERNS_18TensorIteratorBaseEENKUlvE_clEvENKUlvE_clEvEUldE_EEvS5_RKT_EUlibE_EEviT1_,comdat
	.globl	_ZN2at6native32elementwise_kernel_manual_unrollILi128ELi4EZNS0_15gpu_kernel_implIZZZNS0_12_GLOBAL__N_121bessel_y0_kernel_cudaERNS_18TensorIteratorBaseEENKUlvE_clEvENKUlvE_clEvEUldE_EEvS5_RKT_EUlibE_EEviT1_ ; -- Begin function _ZN2at6native32elementwise_kernel_manual_unrollILi128ELi4EZNS0_15gpu_kernel_implIZZZNS0_12_GLOBAL__N_121bessel_y0_kernel_cudaERNS_18TensorIteratorBaseEENKUlvE_clEvENKUlvE_clEvEUldE_EEvS5_RKT_EUlibE_EEviT1_
	.p2align	8
	.type	_ZN2at6native32elementwise_kernel_manual_unrollILi128ELi4EZNS0_15gpu_kernel_implIZZZNS0_12_GLOBAL__N_121bessel_y0_kernel_cudaERNS_18TensorIteratorBaseEENKUlvE_clEvENKUlvE_clEvEUldE_EEvS5_RKT_EUlibE_EEviT1_,@function
_ZN2at6native32elementwise_kernel_manual_unrollILi128ELi4EZNS0_15gpu_kernel_implIZZZNS0_12_GLOBAL__N_121bessel_y0_kernel_cudaERNS_18TensorIteratorBaseEENKUlvE_clEvENKUlvE_clEvEUldE_EEvS5_RKT_EUlibE_EEviT1_: ; @_ZN2at6native32elementwise_kernel_manual_unrollILi128ELi4EZNS0_15gpu_kernel_implIZZZNS0_12_GLOBAL__N_121bessel_y0_kernel_cudaERNS_18TensorIteratorBaseEENKUlvE_clEvENKUlvE_clEvEUldE_EEvS5_RKT_EUlibE_EEviT1_
; %bb.0:
	v_mov_b32_e32 v1, 0
	global_load_ushort v1, v1, s[4:5] offset:33
	s_load_dword s66, s[4:5], 0x0
	s_load_dwordx2 s[34:35], s[4:5], 0x18
	s_load_dwordx4 s[36:39], s[4:5], 0x8
	v_lshl_or_b32 v40, s6, 9, v0
	s_add_u32 s0, s0, s7
	v_mov_b32_e32 v2, 8
	v_or_b32_e32 v42, 0x180, v40
	s_addc_u32 s1, s1, 0
	s_mov_b64 s[48:49], 0
	s_waitcnt lgkmcnt(0)
	v_cmp_le_i32_e32 vcc, s66, v42
	s_mov_b64 s[52:53], 0
	s_movk_i32 s32, 0x1000
	s_waitcnt vmcnt(0)
	v_readfirstlane_b32 s33, v1
	v_lshrrev_b32_sdwa v41, v2, v1 dst_sel:DWORD dst_unused:UNUSED_PAD src0_sel:DWORD src1_sel:WORD_0
	s_and_saveexec_b64 s[4:5], vcc
	s_xor_b64 s[50:51], exec, s[4:5]
	s_cbranch_execz .LBB9_512
; %bb.1:
	v_cmp_gt_i32_e32 vcc, s66, v40
	s_mov_b64 s[4:5], -1
	s_mov_b64 s[60:61], 0
	s_and_saveexec_b64 s[54:55], vcc
                                        ; implicit-def: $vgpr2_vgpr3
	s_cbranch_execz .LBB9_124
; %bb.2:
	s_getpc_b64 s[4:5]
	s_add_u32 s4, s4, _ZN2at6native6invokeIZZZNS0_12_GLOBAL__N_121bessel_y0_kernel_cudaERNS_18TensorIteratorBaseEENKUlvE_clEvENKUlvE_clEvEUldE_i15function_traitsIS7_EEENT1_11result_typeERKT_PrKPcPKT0_PKN3c1010ScalarTypeEi@rel32@lo+4
	s_addc_u32 s5, s5, _ZN2at6native6invokeIZZZNS0_12_GLOBAL__N_121bessel_y0_kernel_cudaERNS_18TensorIteratorBaseEENKUlvE_clEvENKUlvE_clEvEUldE_i15function_traitsIS7_EEENT1_11result_typeERKT_PrKPcPKT0_PKN3c1010ScalarTypeEi@rel32@hi+12
	v_mov_b32_e32 v0, s38
	v_mov_b32_e32 v1, s39
	;; [unrolled: 1-line block ×5, first 2 shown]
	s_swappc_b64 s[30:31], s[4:5]
	v_mul_lo_u32 v2, v40, s34
	v_mov_b32_e32 v3, s37
	s_and_b32 s12, s33, 0xff
	s_cmp_lt_i32 s12, 11
	v_ashrrev_i32_e32 v5, 31, v2
	v_add_co_u32_e32 v4, vcc, s36, v2
	v_addc_co_u32_e32 v5, vcc, v3, v5, vcc
	s_cbranch_scc1 .LBB9_9
; %bb.3:
	s_and_b32 s13, 0xffff, s12
	s_cmp_gt_i32 s13, 25
	s_cbranch_scc0 .LBB9_12
; %bb.4:
	s_cmp_gt_i32 s13, 28
	s_cbranch_scc0 .LBB9_13
; %bb.5:
	;; [unrolled: 3-line block ×4, first 2 shown]
	s_mov_b64 s[8:9], 0
	s_mov_b64 s[4:5], -1
	s_cmp_eq_u32 s13, 46
	s_mov_b64 s[6:7], 0
	s_cbranch_scc0 .LBB9_16
; %bb.8:
	v_cvt_f32_f64_e32 v2, v[0:1]
	s_movk_i32 s4, 0x7fff
	v_mov_b32_e32 v3, 0x7fc0
	s_mov_b64 s[6:7], -1
	v_bfe_u32 v6, v2, 16, 1
	v_cmp_o_f32_e32 vcc, v2, v2
	v_add3_u32 v2, v2, v6, s4
	v_cndmask_b32_sdwa v2, v3, v2, vcc dst_sel:DWORD dst_unused:UNUSED_PAD src0_sel:DWORD src1_sel:WORD_1
	global_store_dword v[4:5], v2, off
	s_mov_b64 s[4:5], 0
	s_branch .LBB9_16
.LBB9_9:
	s_mov_b64 s[4:5], 0
	s_mov_b64 s[6:7], 0
	s_cbranch_execnz .LBB9_84
.LBB9_10:
	s_andn2_b64 vcc, exec, s[6:7]
	s_cbranch_vccnz .LBB9_122
.LBB9_11:
	v_add_u32_e32 v40, 0x80, v40
	s_mov_b64 s[6:7], -1
	s_branch .LBB9_123
.LBB9_12:
	s_mov_b64 s[4:5], 0
	s_mov_b64 s[6:7], 0
	s_cbranch_execnz .LBB9_43
	s_branch .LBB9_83
.LBB9_13:
	s_mov_b64 s[8:9], -1
	s_mov_b64 s[4:5], 0
	s_mov_b64 s[6:7], 0
	s_branch .LBB9_26
.LBB9_14:
	s_mov_b64 s[8:9], -1
	s_mov_b64 s[4:5], 0
	s_mov_b64 s[6:7], 0
	s_branch .LBB9_22
.LBB9_15:
	s_mov_b64 s[8:9], -1
	s_mov_b64 s[4:5], 0
	s_mov_b64 s[6:7], 0
.LBB9_16:
	s_and_b64 vcc, exec, s[8:9]
	s_cbranch_vccz .LBB9_21
; %bb.17:
	s_cmp_eq_u32 s13, 44
	s_mov_b64 s[4:5], -1
	s_cbranch_scc0 .LBB9_21
; %bb.18:
	v_cvt_f32_f64_e32 v2, v[0:1]
	s_movk_i32 s4, 0xff
	v_mov_b32_e32 v6, 0xff
	v_bfe_u32 v3, v2, 23, 8
	v_cmp_ne_u32_e32 vcc, s4, v3
	s_and_saveexec_b64 s[6:7], vcc
; %bb.19:
	s_mov_b32 s4, 0x3fffff
	v_lshrrev_b32_e32 v6, 23, v2
	v_and_b32_e32 v7, 0x400000, v2
	v_and_or_b32 v2, v2, s4, v3
	v_cmp_ne_u32_e32 vcc, 0, v7
	v_cmp_ne_u32_e64 s[4:5], 0, v2
	s_and_b64 s[4:5], vcc, s[4:5]
	v_cndmask_b32_e64 v2, 0, 1, s[4:5]
	v_add_u32_e32 v6, v6, v2
; %bb.20:
	s_or_b64 exec, exec, s[6:7]
	s_mov_b64 s[6:7], -1
	s_mov_b64 s[4:5], 0
	global_store_byte v[4:5], v6, off
.LBB9_21:
	s_mov_b64 s[8:9], 0
.LBB9_22:
	s_and_b64 vcc, exec, s[8:9]
	s_cbranch_vccz .LBB9_25
; %bb.23:
	s_cmp_eq_u32 s13, 29
	s_mov_b64 s[4:5], -1
	s_cbranch_scc0 .LBB9_25
; %bb.24:
	v_trunc_f64_e32 v[2:3], v[0:1]
	s_movk_i32 s4, 0xffe0
	s_mov_b64 s[6:7], -1
	s_mov_b64 s[8:9], 0
	v_ldexp_f64 v[6:7], v[2:3], s4
	s_mov_b32 s4, 0
	s_mov_b32 s5, 0xc1f00000
	v_floor_f64_e32 v[6:7], v[6:7]
	v_fma_f64 v[2:3], v[6:7], s[4:5], v[2:3]
	v_cvt_u32_f64_e32 v7, v[6:7]
	s_mov_b64 s[4:5], 0
	v_cvt_u32_f64_e32 v6, v[2:3]
	global_store_dwordx2 v[4:5], v[6:7], off
	s_branch .LBB9_26
.LBB9_25:
	s_mov_b64 s[8:9], 0
.LBB9_26:
	s_and_b64 vcc, exec, s[8:9]
	s_cbranch_vccz .LBB9_42
; %bb.27:
	s_cmp_lt_i32 s13, 27
	s_mov_b64 s[6:7], -1
	s_cbranch_scc1 .LBB9_33
; %bb.28:
	v_cvt_u32_f64_e32 v2, v[0:1]
	s_cmp_gt_i32 s13, 27
	s_cbranch_scc0 .LBB9_30
; %bb.29:
	s_mov_b64 s[6:7], 0
	global_store_dword v[4:5], v2, off
.LBB9_30:
	s_andn2_b64 vcc, exec, s[6:7]
	s_cbranch_vccnz .LBB9_32
; %bb.31:
	global_store_short v[4:5], v2, off
.LBB9_32:
	s_mov_b64 s[6:7], 0
.LBB9_33:
	s_andn2_b64 vcc, exec, s[6:7]
	s_cbranch_vccnz .LBB9_41
; %bb.34:
	v_cvt_f32_f64_e32 v2, v[0:1]
	s_mov_b32 s6, 0x43800000
	v_mov_b32_e32 v6, 0x80
	v_and_b32_e32 v3, 0x7fffffff, v2
	v_cmp_gt_u32_e32 vcc, s6, v3
	s_and_saveexec_b64 s[6:7], vcc
	s_cbranch_execz .LBB9_40
; %bb.35:
	s_mov_b32 s8, 0x3bffffff
	v_cmp_lt_u32_e32 vcc, s8, v3
	s_mov_b64 s[8:9], 0
                                        ; implicit-def: $vgpr3
	s_and_saveexec_b64 s[10:11], vcc
	s_xor_b64 s[10:11], exec, s[10:11]
	s_cbranch_execz .LBB9_141
; %bb.36:
	v_bfe_u32 v3, v2, 20, 1
	s_mov_b32 s14, 0x487ffff
	v_add3_u32 v3, v2, v3, s14
	s_mov_b64 s[8:9], exec
	v_lshrrev_b32_e32 v3, 20, v3
	s_andn2_saveexec_b64 s[10:11], s[10:11]
	s_cbranch_execnz .LBB9_142
.LBB9_37:
	s_or_b64 exec, exec, s[10:11]
	v_mov_b32_e32 v6, 0
	s_and_saveexec_b64 s[10:11], s[8:9]
.LBB9_38:
	v_lshrrev_b32_e32 v2, 24, v2
	s_movk_i32 s8, 0x80
	v_and_or_b32 v6, v2, s8, v3
.LBB9_39:
	s_or_b64 exec, exec, s[10:11]
.LBB9_40:
	s_or_b64 exec, exec, s[6:7]
	global_store_byte v[4:5], v6, off
.LBB9_41:
	s_mov_b64 s[6:7], -1
.LBB9_42:
	s_branch .LBB9_83
.LBB9_43:
	s_cmp_gt_i32 s13, 22
	s_mov_b64 s[8:9], -1
	s_cbranch_scc0 .LBB9_75
; %bb.44:
	s_cmp_lt_i32 s13, 24
	s_mov_b64 s[6:7], -1
	s_cbranch_scc1 .LBB9_64
; %bb.45:
	s_cmp_gt_i32 s13, 24
	s_cbranch_scc0 .LBB9_53
; %bb.46:
	v_cvt_f32_f64_e32 v2, v[0:1]
	s_mov_b32 s6, 0x47800000
	v_mov_b32_e32 v6, 0x80
	v_and_b32_e32 v3, 0x7fffffff, v2
	v_cmp_gt_u32_e32 vcc, s6, v3
	s_and_saveexec_b64 s[6:7], vcc
	s_cbranch_execz .LBB9_52
; %bb.47:
	s_mov_b32 s8, 0x37ffffff
	v_cmp_lt_u32_e32 vcc, s8, v3
	s_mov_b64 s[8:9], 0
                                        ; implicit-def: $vgpr3
	s_and_saveexec_b64 s[10:11], vcc
	s_xor_b64 s[10:11], exec, s[10:11]
	s_cbranch_execz .LBB9_144
; %bb.48:
	v_bfe_u32 v3, v2, 21, 1
	s_mov_b32 s14, 0x88fffff
	v_add3_u32 v3, v2, v3, s14
	s_mov_b64 s[8:9], exec
	v_lshrrev_b32_e32 v3, 21, v3
	s_andn2_saveexec_b64 s[10:11], s[10:11]
	s_cbranch_execnz .LBB9_145
.LBB9_49:
	s_or_b64 exec, exec, s[10:11]
	v_mov_b32_e32 v6, 0
	s_and_saveexec_b64 s[10:11], s[8:9]
.LBB9_50:
	v_lshrrev_b32_e32 v2, 24, v2
	s_movk_i32 s8, 0x80
	v_and_or_b32 v6, v2, s8, v3
.LBB9_51:
	s_or_b64 exec, exec, s[10:11]
.LBB9_52:
	s_or_b64 exec, exec, s[6:7]
	s_mov_b64 s[6:7], 0
	global_store_byte v[4:5], v6, off
.LBB9_53:
	s_and_b64 vcc, exec, s[6:7]
	s_cbranch_vccz .LBB9_63
; %bb.54:
	v_cvt_f32_f64_e32 v2, v[0:1]
	s_mov_b32 s6, 0x43f00000
                                        ; implicit-def: $vgpr3
	v_and_b32_e32 v6, 0x7fffffff, v2
	v_cmp_gt_u32_e32 vcc, s6, v6
	s_and_saveexec_b64 s[6:7], vcc
	s_xor_b64 s[6:7], exec, s[6:7]
	s_cbranch_execz .LBB9_60
; %bb.55:
	s_mov_b32 s8, 0x3c7fffff
	v_cmp_lt_u32_e32 vcc, s8, v6
                                        ; implicit-def: $vgpr3
	s_and_saveexec_b64 s[8:9], vcc
	s_xor_b64 s[8:9], exec, s[8:9]
; %bb.56:
	v_bfe_u32 v3, v2, 20, 1
	s_mov_b32 s10, 0x407ffff
	v_add3_u32 v3, v2, v3, s10
	v_lshrrev_b32_e32 v6, 20, v3
	v_and_b32_e32 v3, 0xff00000, v3
	s_mov_b32 s10, 0x7f00000
	v_mov_b32_e32 v7, 0x7e
	v_cmp_ne_u32_e32 vcc, s10, v3
	v_cndmask_b32_e32 v3, v7, v6, vcc
; %bb.57:
	s_andn2_saveexec_b64 s[8:9], s[8:9]
; %bb.58:
	s_mov_b32 s10, 0x46800000
	v_add_f32_e64 v3, |v2|, s10
; %bb.59:
	s_or_b64 exec, exec, s[8:9]
                                        ; implicit-def: $vgpr6
.LBB9_60:
	s_andn2_saveexec_b64 s[6:7], s[6:7]
; %bb.61:
	s_mov_b32 s8, 0x7f800000
	v_mov_b32_e32 v3, 0x7e
	v_mov_b32_e32 v7, 0x7f
	v_cmp_lt_u32_e32 vcc, s8, v6
	v_cndmask_b32_e32 v3, v3, v7, vcc
; %bb.62:
	s_or_b64 exec, exec, s[6:7]
	v_lshrrev_b32_e32 v2, 24, v2
	s_movk_i32 s6, 0x80
	v_and_or_b32 v2, v2, s6, v3
	global_store_byte v[4:5], v2, off
.LBB9_63:
	s_mov_b64 s[6:7], 0
.LBB9_64:
	s_andn2_b64 vcc, exec, s[6:7]
	s_cbranch_vccnz .LBB9_74
; %bb.65:
	v_cvt_f32_f64_e32 v2, v[0:1]
	s_mov_b32 s6, 0x47800000
                                        ; implicit-def: $vgpr3
	v_and_b32_e32 v6, 0x7fffffff, v2
	v_cmp_gt_u32_e32 vcc, s6, v6
	s_and_saveexec_b64 s[6:7], vcc
	s_xor_b64 s[6:7], exec, s[6:7]
	s_cbranch_execz .LBB9_71
; %bb.66:
	s_mov_b32 s8, 0x387fffff
	v_cmp_lt_u32_e32 vcc, s8, v6
                                        ; implicit-def: $vgpr3
	s_and_saveexec_b64 s[8:9], vcc
	s_xor_b64 s[8:9], exec, s[8:9]
; %bb.67:
	v_bfe_u32 v3, v2, 21, 1
	s_mov_b32 s10, 0x80fffff
	v_add3_u32 v3, v2, v3, s10
	v_lshrrev_b32_e32 v3, 21, v3
; %bb.68:
	s_andn2_saveexec_b64 s[8:9], s[8:9]
; %bb.69:
	s_mov_b32 s10, 0x43000000
	v_add_f32_e64 v3, |v2|, s10
; %bb.70:
	s_or_b64 exec, exec, s[8:9]
                                        ; implicit-def: $vgpr6
.LBB9_71:
	s_andn2_saveexec_b64 s[6:7], s[6:7]
; %bb.72:
	s_mov_b32 s8, 0x7f800000
	v_mov_b32_e32 v3, 0x7c
	v_mov_b32_e32 v7, 0x7f
	v_cmp_lt_u32_e32 vcc, s8, v6
	v_cndmask_b32_e32 v3, v3, v7, vcc
; %bb.73:
	s_or_b64 exec, exec, s[6:7]
	v_lshrrev_b32_e32 v2, 24, v2
	s_movk_i32 s6, 0x80
	v_and_or_b32 v2, v2, s6, v3
	global_store_byte v[4:5], v2, off
.LBB9_74:
	s_mov_b64 s[8:9], 0
	s_mov_b64 s[6:7], -1
.LBB9_75:
	s_andn2_b64 vcc, exec, s[8:9]
	s_cbranch_vccnz .LBB9_83
; %bb.76:
	s_cmp_gt_i32 s13, 14
	s_mov_b64 s[8:9], -1
	s_cbranch_scc0 .LBB9_80
; %bb.77:
	s_cmp_eq_u32 s13, 15
	s_mov_b64 s[4:5], -1
	s_cbranch_scc0 .LBB9_79
; %bb.78:
	v_cvt_f32_f64_e32 v2, v[0:1]
	s_movk_i32 s4, 0x7fff
	v_mov_b32_e32 v3, 0x7fc0
	s_mov_b64 s[6:7], -1
	v_bfe_u32 v6, v2, 16, 1
	v_cmp_o_f32_e32 vcc, v2, v2
	v_add3_u32 v2, v2, v6, s4
	v_cndmask_b32_sdwa v2, v3, v2, vcc dst_sel:DWORD dst_unused:UNUSED_PAD src0_sel:DWORD src1_sel:WORD_1
	global_store_short v[4:5], v2, off
	s_mov_b64 s[4:5], 0
.LBB9_79:
	s_mov_b64 s[8:9], 0
.LBB9_80:
	s_and_b64 vcc, exec, s[8:9]
	s_cbranch_vccz .LBB9_83
; %bb.81:
	s_cmp_eq_u32 s13, 11
	s_mov_b64 s[4:5], -1
	s_cbranch_scc0 .LBB9_83
; %bb.82:
	v_cmp_neq_f64_e32 vcc, 0, v[0:1]
	s_mov_b64 s[4:5], 0
	s_mov_b64 s[6:7], -1
	v_cndmask_b32_e64 v2, 0, 1, vcc
	global_store_byte v[4:5], v2, off
.LBB9_83:
	s_branch .LBB9_10
.LBB9_84:
	s_and_b32 s8, 0xffff, s12
	s_cmp_lt_i32 s8, 5
	s_mov_b64 s[6:7], -1
	s_cbranch_scc1 .LBB9_105
; %bb.85:
	s_cmp_lt_i32 s8, 8
	s_cbranch_scc1 .LBB9_95
; %bb.86:
	s_cmp_lt_i32 s8, 9
	s_cbranch_scc1 .LBB9_92
; %bb.87:
	s_cmp_gt_i32 s8, 9
	s_cbranch_scc0 .LBB9_89
; %bb.88:
	v_mov_b32_e32 v2, 0
	v_mov_b32_e32 v3, v2
	global_store_dwordx4 v[4:5], v[0:3], off
	s_mov_b64 s[6:7], 0
.LBB9_89:
	s_andn2_b64 vcc, exec, s[6:7]
	s_cbranch_vccnz .LBB9_91
; %bb.90:
	v_cvt_f32_f64_e32 v2, v[0:1]
	v_mov_b32_e32 v3, 0
	global_store_dwordx2 v[4:5], v[2:3], off
.LBB9_91:
	s_mov_b64 s[6:7], 0
.LBB9_92:
	s_andn2_b64 vcc, exec, s[6:7]
	s_cbranch_vccnz .LBB9_94
; %bb.93:
	s_movk_i32 s6, 0x1ff
	v_and_or_b32 v2, v1, s6, v0
	v_cmp_ne_u32_e32 vcc, 0, v2
	v_cndmask_b32_e64 v2, 0, 1, vcc
	v_lshrrev_b32_e32 v3, 8, v1
	s_movk_i32 s6, 0xffe
	v_bfe_u32 v6, v1, 20, 11
	v_and_or_b32 v2, v3, s6, v2
	v_sub_u32_e32 v7, 0x3f1, v6
	v_or_b32_e32 v3, 0x1000, v2
	v_med3_i32 v7, v7, 0, 13
	v_lshrrev_b32_e32 v8, v7, v3
	v_lshlrev_b32_e32 v7, v7, v8
	v_cmp_ne_u32_e32 vcc, v7, v3
	v_cndmask_b32_e64 v3, 0, 1, vcc
	v_add_u32_e32 v6, 0xfffffc10, v6
	v_or_b32_e32 v3, v8, v3
	v_lshl_or_b32 v7, v6, 12, v2
	v_cmp_gt_i32_e32 vcc, 1, v6
	v_cndmask_b32_e32 v3, v7, v3, vcc
	v_and_b32_e32 v7, 7, v3
	v_cmp_lt_i32_e32 vcc, 5, v7
	v_cndmask_b32_e64 v8, 0, 1, vcc
	v_cmp_eq_u32_e32 vcc, 3, v7
	v_cndmask_b32_e64 v7, 0, 1, vcc
	v_or_b32_e32 v7, v7, v8
	v_lshrrev_b32_e32 v3, 2, v3
	v_add_u32_e32 v3, v3, v7
	v_mov_b32_e32 v7, 0x7c00
	v_cmp_gt_i32_e32 vcc, 31, v6
	v_cndmask_b32_e32 v3, v7, v3, vcc
	v_mov_b32_e32 v8, 0x7e00
	v_cmp_ne_u32_e32 vcc, 0, v2
	s_movk_i32 s6, 0x40f
	v_cndmask_b32_e32 v2, v7, v8, vcc
	v_cmp_eq_u32_e32 vcc, s6, v6
	v_cndmask_b32_e32 v2, v3, v2, vcc
	v_lshrrev_b32_e32 v3, 16, v1
	s_mov_b32 s6, 0x8000
	v_and_or_b32 v2, v3, s6, v2
	v_and_b32_e32 v2, 0xffff, v2
	global_store_dword v[4:5], v2, off
.LBB9_94:
	s_mov_b64 s[6:7], 0
.LBB9_95:
	s_andn2_b64 vcc, exec, s[6:7]
	s_cbranch_vccnz .LBB9_104
; %bb.96:
	s_cmp_lt_i32 s8, 6
	s_mov_b64 s[6:7], -1
	s_cbranch_scc1 .LBB9_102
; %bb.97:
	s_cmp_gt_i32 s8, 6
	s_cbranch_scc0 .LBB9_99
; %bb.98:
	global_store_dwordx2 v[4:5], v[0:1], off
	s_mov_b64 s[6:7], 0
.LBB9_99:
	s_andn2_b64 vcc, exec, s[6:7]
	s_cbranch_vccnz .LBB9_101
; %bb.100:
	v_cvt_f32_f64_e32 v2, v[0:1]
	global_store_dword v[4:5], v2, off
.LBB9_101:
	s_mov_b64 s[6:7], 0
.LBB9_102:
	s_andn2_b64 vcc, exec, s[6:7]
	s_cbranch_vccnz .LBB9_104
; %bb.103:
	s_movk_i32 s6, 0x1ff
	v_and_or_b32 v2, v1, s6, v0
	v_cmp_ne_u32_e32 vcc, 0, v2
	v_cndmask_b32_e64 v2, 0, 1, vcc
	v_lshrrev_b32_e32 v3, 8, v1
	s_movk_i32 s6, 0xffe
	v_bfe_u32 v6, v1, 20, 11
	v_and_or_b32 v2, v3, s6, v2
	v_sub_u32_e32 v7, 0x3f1, v6
	v_or_b32_e32 v3, 0x1000, v2
	v_med3_i32 v7, v7, 0, 13
	v_lshrrev_b32_e32 v8, v7, v3
	v_lshlrev_b32_e32 v7, v7, v8
	v_cmp_ne_u32_e32 vcc, v7, v3
	v_cndmask_b32_e64 v3, 0, 1, vcc
	v_add_u32_e32 v6, 0xfffffc10, v6
	v_or_b32_e32 v3, v8, v3
	v_lshl_or_b32 v7, v6, 12, v2
	v_cmp_gt_i32_e32 vcc, 1, v6
	v_cndmask_b32_e32 v3, v7, v3, vcc
	v_and_b32_e32 v7, 7, v3
	v_cmp_lt_i32_e32 vcc, 5, v7
	v_cndmask_b32_e64 v8, 0, 1, vcc
	v_cmp_eq_u32_e32 vcc, 3, v7
	v_cndmask_b32_e64 v7, 0, 1, vcc
	v_or_b32_e32 v7, v7, v8
	v_lshrrev_b32_e32 v3, 2, v3
	v_add_u32_e32 v3, v3, v7
	v_mov_b32_e32 v7, 0x7c00
	v_cmp_gt_i32_e32 vcc, 31, v6
	v_cndmask_b32_e32 v3, v7, v3, vcc
	v_mov_b32_e32 v8, 0x7e00
	v_cmp_ne_u32_e32 vcc, 0, v2
	s_movk_i32 s6, 0x40f
	v_cndmask_b32_e32 v2, v7, v8, vcc
	v_cmp_eq_u32_e32 vcc, s6, v6
	v_cndmask_b32_e32 v2, v3, v2, vcc
	v_lshrrev_b32_e32 v3, 16, v1
	s_mov_b32 s6, 0x8000
	v_and_or_b32 v2, v3, s6, v2
	global_store_short v[4:5], v2, off
.LBB9_104:
	s_mov_b64 s[6:7], 0
.LBB9_105:
	s_andn2_b64 vcc, exec, s[6:7]
	s_cbranch_vccnz .LBB9_121
; %bb.106:
	s_cmp_lt_i32 s8, 2
	s_mov_b64 s[6:7], -1
	s_cbranch_scc1 .LBB9_116
; %bb.107:
	s_cmp_lt_i32 s8, 3
	s_cbranch_scc1 .LBB9_113
; %bb.108:
	s_cmp_gt_i32 s8, 3
	s_cbranch_scc0 .LBB9_110
; %bb.109:
	v_trunc_f64_e32 v[2:3], v[0:1]
	s_movk_i32 s6, 0xffe0
	v_ldexp_f64 v[6:7], v[2:3], s6
	s_mov_b32 s6, 0
	s_mov_b32 s7, 0xc1f00000
	v_floor_f64_e32 v[6:7], v[6:7]
	v_fma_f64 v[2:3], v[6:7], s[6:7], v[2:3]
	v_cvt_i32_f64_e32 v7, v[6:7]
	s_mov_b64 s[6:7], 0
	v_cvt_u32_f64_e32 v6, v[2:3]
	global_store_dwordx2 v[4:5], v[6:7], off
.LBB9_110:
	s_andn2_b64 vcc, exec, s[6:7]
	s_cbranch_vccnz .LBB9_112
; %bb.111:
	v_cvt_i32_f64_e32 v2, v[0:1]
	global_store_dword v[4:5], v2, off
.LBB9_112:
	s_mov_b64 s[6:7], 0
.LBB9_113:
	s_andn2_b64 vcc, exec, s[6:7]
	s_cbranch_vccnz .LBB9_115
; %bb.114:
	v_cvt_i32_f64_e32 v2, v[0:1]
	global_store_short v[4:5], v2, off
.LBB9_115:
	s_mov_b64 s[6:7], 0
.LBB9_116:
	s_andn2_b64 vcc, exec, s[6:7]
	s_cbranch_vccnz .LBB9_121
; %bb.117:
	s_cmp_gt_i32 s8, 0
	s_mov_b64 s[6:7], -1
	s_cbranch_scc0 .LBB9_119
; %bb.118:
	v_cvt_i32_f64_e32 v2, v[0:1]
	s_mov_b64 s[6:7], 0
	global_store_byte v[4:5], v2, off
.LBB9_119:
	s_andn2_b64 vcc, exec, s[6:7]
	s_cbranch_vccnz .LBB9_121
; %bb.120:
	v_trunc_f64_e32 v[0:1], v[0:1]
	s_movk_i32 s6, 0xffe0
	v_ldexp_f64 v[2:3], v[0:1], s6
	s_mov_b32 s6, 0
	s_mov_b32 s7, 0xc1f00000
	v_floor_f64_e32 v[2:3], v[2:3]
	v_fma_f64 v[0:1], v[2:3], s[6:7], v[0:1]
	v_cvt_u32_f64_e32 v0, v[0:1]
	global_store_byte v[4:5], v0, off
.LBB9_121:
	s_branch .LBB9_11
.LBB9_122:
	s_mov_b64 s[6:7], 0
                                        ; implicit-def: $vgpr40
.LBB9_123:
	s_and_b64 s[52:53], s[4:5], exec
	s_orn2_b64 s[4:5], s[6:7], exec
.LBB9_124:
	s_or_b64 exec, exec, s[54:55]
	s_mov_b64 s[6:7], 0
                                        ; implicit-def: $sgpr14
                                        ; implicit-def: $vgpr4_vgpr5
                                        ; implicit-def: $vgpr0_vgpr1
	s_and_saveexec_b64 s[54:55], s[4:5]
	s_cbranch_execz .LBB9_133
; %bb.125:
	v_cmp_gt_i32_e32 vcc, s66, v40
	s_mov_b64 s[8:9], -1
	s_mov_b64 s[58:59], s[52:53]
	s_and_saveexec_b64 s[60:61], vcc
	s_cbranch_execz .LBB9_256
; %bb.126:
	s_getpc_b64 s[4:5]
	s_add_u32 s4, s4, _ZN2at6native6invokeIZZZNS0_12_GLOBAL__N_121bessel_y0_kernel_cudaERNS_18TensorIteratorBaseEENKUlvE_clEvENKUlvE_clEvEUldE_i15function_traitsIS7_EEENT1_11result_typeERKT_PrKPcPKT0_PKN3c1010ScalarTypeEi@rel32@lo+4
	s_addc_u32 s5, s5, _ZN2at6native6invokeIZZZNS0_12_GLOBAL__N_121bessel_y0_kernel_cudaERNS_18TensorIteratorBaseEENKUlvE_clEvENKUlvE_clEvEUldE_i15function_traitsIS7_EEENT1_11result_typeERKT_PrKPcPKT0_PKN3c1010ScalarTypeEi@rel32@hi+12
	v_mov_b32_e32 v0, s38
	v_mov_b32_e32 v1, s39
	;; [unrolled: 1-line block ×5, first 2 shown]
	s_swappc_b64 s[30:31], s[4:5]
	v_mul_lo_u32 v2, v40, s34
	v_mov_b32_e32 v3, s37
	s_and_b32 s12, s33, 0xff
	s_cmp_lt_i32 s12, 11
	v_ashrrev_i32_e32 v5, 31, v2
	v_add_co_u32_e32 v4, vcc, s36, v2
	v_addc_co_u32_e32 v5, vcc, v3, v5, vcc
	s_cbranch_scc1 .LBB9_136
; %bb.127:
	s_and_b32 s13, 0xffff, s12
	s_cmp_gt_i32 s13, 25
	s_cbranch_scc0 .LBB9_139
; %bb.128:
	s_cmp_gt_i32 s13, 28
	s_cbranch_scc0 .LBB9_140
; %bb.129:
	;; [unrolled: 3-line block ×4, first 2 shown]
	s_mov_b64 s[8:9], 0
	s_mov_b64 s[4:5], -1
	s_cmp_eq_u32 s13, 46
	s_mov_b64 s[6:7], 0
	s_cbranch_scc0 .LBB9_147
; %bb.132:
	v_cvt_f32_f64_e32 v2, v[0:1]
	s_movk_i32 s4, 0x7fff
	v_mov_b32_e32 v3, 0x7fc0
	s_mov_b64 s[6:7], -1
	v_bfe_u32 v6, v2, 16, 1
	v_cmp_o_f32_e32 vcc, v2, v2
	v_add3_u32 v2, v2, v6, s4
	v_cndmask_b32_sdwa v2, v3, v2, vcc dst_sel:DWORD dst_unused:UNUSED_PAD src0_sel:DWORD src1_sel:WORD_1
	global_store_dword v[4:5], v2, off
	s_mov_b64 s[4:5], 0
	s_branch .LBB9_147
.LBB9_133:
	s_or_b64 exec, exec, s[54:55]
	s_mov_b64 s[4:5], 0
	s_and_saveexec_b64 s[8:9], s[52:53]
	s_cbranch_execnz .LBB9_472
.LBB9_134:
	s_or_b64 exec, exec, s[8:9]
	s_and_saveexec_b64 s[8:9], s[60:61]
	s_xor_b64 s[8:9], exec, s[8:9]
	s_cbranch_execz .LBB9_473
.LBB9_135:
	v_cmp_neq_f64_e32 vcc, 0, v[0:1]
	v_cndmask_b32_e64 v2, 0, 1, vcc
	global_store_byte v[4:5], v2, off
	s_or_b64 exec, exec, s[8:9]
	s_and_saveexec_b64 s[8:9], s[6:7]
	s_xor_b64 s[6:7], exec, s[8:9]
	s_cbranch_execz .LBB9_511
	s_branch .LBB9_474
.LBB9_136:
	s_mov_b64 s[6:7], 0
	s_mov_b64 s[4:5], s[52:53]
	s_cbranch_execnz .LBB9_216
.LBB9_137:
	s_andn2_b64 vcc, exec, s[6:7]
	s_cbranch_vccnz .LBB9_254
.LBB9_138:
	v_add_u32_e32 v40, 0x80, v40
	s_mov_b64 s[6:7], -1
	s_branch .LBB9_255
.LBB9_139:
	s_mov_b64 s[8:9], -1
	s_mov_b64 s[6:7], 0
	s_mov_b64 s[4:5], s[52:53]
	s_branch .LBB9_174
.LBB9_140:
	s_mov_b64 s[8:9], -1
	s_mov_b64 s[6:7], 0
	s_mov_b64 s[4:5], s[52:53]
	s_branch .LBB9_157
.LBB9_141:
	s_andn2_saveexec_b64 s[10:11], s[10:11]
	s_cbranch_execz .LBB9_37
.LBB9_142:
	s_mov_b32 s14, 0x46000000
	v_add_f32_e64 v3, |v2|, s14
	v_and_b32_e32 v3, 0xff, v3
	v_cmp_ne_u32_e32 vcc, 0, v3
	s_andn2_b64 s[8:9], s[8:9], exec
	s_and_b64 s[14:15], vcc, exec
	s_or_b64 s[8:9], s[8:9], s[14:15]
	s_or_b64 exec, exec, s[10:11]
	v_mov_b32_e32 v6, 0
	s_and_saveexec_b64 s[10:11], s[8:9]
	s_cbranch_execnz .LBB9_38
	s_branch .LBB9_39
.LBB9_143:
	s_mov_b64 s[8:9], -1
	s_mov_b64 s[6:7], 0
	s_mov_b64 s[4:5], s[52:53]
	s_branch .LBB9_153
.LBB9_144:
	s_andn2_saveexec_b64 s[10:11], s[10:11]
	s_cbranch_execz .LBB9_49
.LBB9_145:
	s_mov_b32 s14, 0x42800000
	v_add_f32_e64 v3, |v2|, s14
	v_and_b32_e32 v3, 0xff, v3
	v_cmp_ne_u32_e32 vcc, 0, v3
	s_andn2_b64 s[8:9], s[8:9], exec
	s_and_b64 s[14:15], vcc, exec
	s_or_b64 s[8:9], s[8:9], s[14:15]
	s_or_b64 exec, exec, s[10:11]
	v_mov_b32_e32 v6, 0
	s_and_saveexec_b64 s[10:11], s[8:9]
	s_cbranch_execnz .LBB9_50
	s_branch .LBB9_51
.LBB9_146:
	s_mov_b64 s[8:9], -1
	s_mov_b64 s[6:7], 0
	s_mov_b64 s[4:5], s[52:53]
.LBB9_147:
	s_and_b64 vcc, exec, s[8:9]
	s_cbranch_vccz .LBB9_152
; %bb.148:
	s_cmp_eq_u32 s13, 44
	s_mov_b64 s[4:5], -1
	s_cbranch_scc0 .LBB9_152
; %bb.149:
	v_cvt_f32_f64_e32 v2, v[0:1]
	s_movk_i32 s4, 0xff
	v_mov_b32_e32 v6, 0xff
	v_bfe_u32 v3, v2, 23, 8
	v_cmp_ne_u32_e32 vcc, s4, v3
	s_and_saveexec_b64 s[6:7], vcc
; %bb.150:
	s_mov_b32 s4, 0x3fffff
	v_lshrrev_b32_e32 v6, 23, v2
	v_and_b32_e32 v7, 0x400000, v2
	v_and_or_b32 v2, v2, s4, v3
	v_cmp_ne_u32_e32 vcc, 0, v7
	v_cmp_ne_u32_e64 s[4:5], 0, v2
	s_and_b64 s[4:5], vcc, s[4:5]
	v_cndmask_b32_e64 v2, 0, 1, s[4:5]
	v_add_u32_e32 v6, v6, v2
; %bb.151:
	s_or_b64 exec, exec, s[6:7]
	s_mov_b64 s[6:7], -1
	s_mov_b64 s[4:5], 0
	global_store_byte v[4:5], v6, off
.LBB9_152:
	s_mov_b64 s[8:9], 0
.LBB9_153:
	s_and_b64 vcc, exec, s[8:9]
	s_cbranch_vccz .LBB9_156
; %bb.154:
	s_cmp_eq_u32 s13, 29
	s_mov_b64 s[4:5], -1
	s_cbranch_scc0 .LBB9_156
; %bb.155:
	v_trunc_f64_e32 v[2:3], v[0:1]
	s_movk_i32 s4, 0xffe0
	s_mov_b64 s[6:7], -1
	s_mov_b64 s[8:9], 0
	v_ldexp_f64 v[6:7], v[2:3], s4
	s_mov_b32 s4, 0
	s_mov_b32 s5, 0xc1f00000
	v_floor_f64_e32 v[6:7], v[6:7]
	v_fma_f64 v[2:3], v[6:7], s[4:5], v[2:3]
	v_cvt_u32_f64_e32 v7, v[6:7]
	s_mov_b64 s[4:5], 0
	v_cvt_u32_f64_e32 v6, v[2:3]
	global_store_dwordx2 v[4:5], v[6:7], off
	s_branch .LBB9_157
.LBB9_156:
	s_mov_b64 s[8:9], 0
.LBB9_157:
	s_and_b64 vcc, exec, s[8:9]
	s_cbranch_vccz .LBB9_173
; %bb.158:
	s_cmp_lt_i32 s13, 27
	s_mov_b64 s[6:7], -1
	s_cbranch_scc1 .LBB9_164
; %bb.159:
	v_cvt_u32_f64_e32 v2, v[0:1]
	s_cmp_gt_i32 s13, 27
	s_cbranch_scc0 .LBB9_161
; %bb.160:
	s_mov_b64 s[6:7], 0
	global_store_dword v[4:5], v2, off
.LBB9_161:
	s_andn2_b64 vcc, exec, s[6:7]
	s_cbranch_vccnz .LBB9_163
; %bb.162:
	global_store_short v[4:5], v2, off
.LBB9_163:
	s_mov_b64 s[6:7], 0
.LBB9_164:
	s_andn2_b64 vcc, exec, s[6:7]
	s_cbranch_vccnz .LBB9_172
; %bb.165:
	v_cvt_f32_f64_e32 v2, v[0:1]
	s_mov_b32 s6, 0x43800000
	v_mov_b32_e32 v6, 0x80
	v_and_b32_e32 v3, 0x7fffffff, v2
	v_cmp_gt_u32_e32 vcc, s6, v3
	s_and_saveexec_b64 s[6:7], vcc
	s_cbranch_execz .LBB9_171
; %bb.166:
	s_mov_b32 s8, 0x3bffffff
	v_cmp_lt_u32_e32 vcc, s8, v3
	s_mov_b64 s[8:9], 0
                                        ; implicit-def: $vgpr3
	s_and_saveexec_b64 s[10:11], vcc
	s_xor_b64 s[10:11], exec, s[10:11]
	s_cbranch_execz .LBB9_268
; %bb.167:
	v_bfe_u32 v3, v2, 20, 1
	s_mov_b32 s14, 0x487ffff
	v_add3_u32 v3, v2, v3, s14
	s_mov_b64 s[8:9], exec
	v_lshrrev_b32_e32 v3, 20, v3
	s_andn2_saveexec_b64 s[10:11], s[10:11]
	s_cbranch_execnz .LBB9_269
.LBB9_168:
	s_or_b64 exec, exec, s[10:11]
	v_mov_b32_e32 v6, 0
	s_and_saveexec_b64 s[10:11], s[8:9]
.LBB9_169:
	v_lshrrev_b32_e32 v2, 24, v2
	s_movk_i32 s8, 0x80
	v_and_or_b32 v6, v2, s8, v3
.LBB9_170:
	s_or_b64 exec, exec, s[10:11]
.LBB9_171:
	s_or_b64 exec, exec, s[6:7]
	global_store_byte v[4:5], v6, off
.LBB9_172:
	s_mov_b64 s[6:7], -1
.LBB9_173:
	s_mov_b64 s[8:9], 0
.LBB9_174:
	s_and_b64 vcc, exec, s[8:9]
	s_cbranch_vccz .LBB9_215
; %bb.175:
	s_cmp_gt_i32 s13, 22
	s_mov_b64 s[8:9], -1
	s_cbranch_scc0 .LBB9_207
; %bb.176:
	s_cmp_lt_i32 s13, 24
	s_mov_b64 s[6:7], -1
	s_cbranch_scc1 .LBB9_196
; %bb.177:
	s_cmp_gt_i32 s13, 24
	s_cbranch_scc0 .LBB9_185
; %bb.178:
	v_cvt_f32_f64_e32 v2, v[0:1]
	s_mov_b32 s6, 0x47800000
	v_mov_b32_e32 v6, 0x80
	v_and_b32_e32 v3, 0x7fffffff, v2
	v_cmp_gt_u32_e32 vcc, s6, v3
	s_and_saveexec_b64 s[6:7], vcc
	s_cbranch_execz .LBB9_184
; %bb.179:
	s_mov_b32 s8, 0x37ffffff
	v_cmp_lt_u32_e32 vcc, s8, v3
	s_mov_b64 s[8:9], 0
                                        ; implicit-def: $vgpr3
	s_and_saveexec_b64 s[10:11], vcc
	s_xor_b64 s[10:11], exec, s[10:11]
	s_cbranch_execz .LBB9_271
; %bb.180:
	v_bfe_u32 v3, v2, 21, 1
	s_mov_b32 s14, 0x88fffff
	v_add3_u32 v3, v2, v3, s14
	s_mov_b64 s[8:9], exec
	v_lshrrev_b32_e32 v3, 21, v3
	s_andn2_saveexec_b64 s[10:11], s[10:11]
	s_cbranch_execnz .LBB9_272
.LBB9_181:
	s_or_b64 exec, exec, s[10:11]
	v_mov_b32_e32 v6, 0
	s_and_saveexec_b64 s[10:11], s[8:9]
.LBB9_182:
	v_lshrrev_b32_e32 v2, 24, v2
	s_movk_i32 s8, 0x80
	v_and_or_b32 v6, v2, s8, v3
.LBB9_183:
	s_or_b64 exec, exec, s[10:11]
.LBB9_184:
	s_or_b64 exec, exec, s[6:7]
	s_mov_b64 s[6:7], 0
	global_store_byte v[4:5], v6, off
.LBB9_185:
	s_and_b64 vcc, exec, s[6:7]
	s_cbranch_vccz .LBB9_195
; %bb.186:
	v_cvt_f32_f64_e32 v2, v[0:1]
	s_mov_b32 s6, 0x43f00000
                                        ; implicit-def: $vgpr3
	v_and_b32_e32 v6, 0x7fffffff, v2
	v_cmp_gt_u32_e32 vcc, s6, v6
	s_and_saveexec_b64 s[6:7], vcc
	s_xor_b64 s[6:7], exec, s[6:7]
	s_cbranch_execz .LBB9_192
; %bb.187:
	s_mov_b32 s8, 0x3c7fffff
	v_cmp_lt_u32_e32 vcc, s8, v6
                                        ; implicit-def: $vgpr3
	s_and_saveexec_b64 s[8:9], vcc
	s_xor_b64 s[8:9], exec, s[8:9]
; %bb.188:
	v_bfe_u32 v3, v2, 20, 1
	s_mov_b32 s10, 0x407ffff
	v_add3_u32 v3, v2, v3, s10
	v_lshrrev_b32_e32 v6, 20, v3
	v_and_b32_e32 v3, 0xff00000, v3
	s_mov_b32 s10, 0x7f00000
	v_mov_b32_e32 v7, 0x7e
	v_cmp_ne_u32_e32 vcc, s10, v3
	v_cndmask_b32_e32 v3, v7, v6, vcc
; %bb.189:
	s_andn2_saveexec_b64 s[8:9], s[8:9]
; %bb.190:
	s_mov_b32 s10, 0x46800000
	v_add_f32_e64 v3, |v2|, s10
; %bb.191:
	s_or_b64 exec, exec, s[8:9]
                                        ; implicit-def: $vgpr6
.LBB9_192:
	s_andn2_saveexec_b64 s[6:7], s[6:7]
; %bb.193:
	s_mov_b32 s8, 0x7f800000
	v_mov_b32_e32 v3, 0x7e
	v_mov_b32_e32 v7, 0x7f
	v_cmp_lt_u32_e32 vcc, s8, v6
	v_cndmask_b32_e32 v3, v3, v7, vcc
; %bb.194:
	s_or_b64 exec, exec, s[6:7]
	v_lshrrev_b32_e32 v2, 24, v2
	s_movk_i32 s6, 0x80
	v_and_or_b32 v2, v2, s6, v3
	global_store_byte v[4:5], v2, off
.LBB9_195:
	s_mov_b64 s[6:7], 0
.LBB9_196:
	s_andn2_b64 vcc, exec, s[6:7]
	s_cbranch_vccnz .LBB9_206
; %bb.197:
	v_cvt_f32_f64_e32 v2, v[0:1]
	s_mov_b32 s6, 0x47800000
                                        ; implicit-def: $vgpr3
	v_and_b32_e32 v6, 0x7fffffff, v2
	v_cmp_gt_u32_e32 vcc, s6, v6
	s_and_saveexec_b64 s[6:7], vcc
	s_xor_b64 s[6:7], exec, s[6:7]
	s_cbranch_execz .LBB9_203
; %bb.198:
	s_mov_b32 s8, 0x387fffff
	v_cmp_lt_u32_e32 vcc, s8, v6
                                        ; implicit-def: $vgpr3
	s_and_saveexec_b64 s[8:9], vcc
	s_xor_b64 s[8:9], exec, s[8:9]
; %bb.199:
	v_bfe_u32 v3, v2, 21, 1
	s_mov_b32 s10, 0x80fffff
	v_add3_u32 v3, v2, v3, s10
	v_lshrrev_b32_e32 v3, 21, v3
; %bb.200:
	s_andn2_saveexec_b64 s[8:9], s[8:9]
; %bb.201:
	s_mov_b32 s10, 0x43000000
	v_add_f32_e64 v3, |v2|, s10
; %bb.202:
	s_or_b64 exec, exec, s[8:9]
                                        ; implicit-def: $vgpr6
.LBB9_203:
	s_andn2_saveexec_b64 s[6:7], s[6:7]
; %bb.204:
	s_mov_b32 s8, 0x7f800000
	v_mov_b32_e32 v3, 0x7c
	v_mov_b32_e32 v7, 0x7f
	v_cmp_lt_u32_e32 vcc, s8, v6
	v_cndmask_b32_e32 v3, v3, v7, vcc
; %bb.205:
	s_or_b64 exec, exec, s[6:7]
	v_lshrrev_b32_e32 v2, 24, v2
	s_movk_i32 s6, 0x80
	v_and_or_b32 v2, v2, s6, v3
	global_store_byte v[4:5], v2, off
.LBB9_206:
	s_mov_b64 s[8:9], 0
	s_mov_b64 s[6:7], -1
.LBB9_207:
	s_andn2_b64 vcc, exec, s[8:9]
	s_cbranch_vccnz .LBB9_215
; %bb.208:
	s_cmp_gt_i32 s13, 14
	s_mov_b64 s[8:9], -1
	s_cbranch_scc0 .LBB9_212
; %bb.209:
	s_cmp_eq_u32 s13, 15
	s_mov_b64 s[4:5], -1
	s_cbranch_scc0 .LBB9_211
; %bb.210:
	v_cvt_f32_f64_e32 v2, v[0:1]
	s_movk_i32 s4, 0x7fff
	v_mov_b32_e32 v3, 0x7fc0
	s_mov_b64 s[6:7], -1
	v_bfe_u32 v6, v2, 16, 1
	v_cmp_o_f32_e32 vcc, v2, v2
	v_add3_u32 v2, v2, v6, s4
	v_cndmask_b32_sdwa v2, v3, v2, vcc dst_sel:DWORD dst_unused:UNUSED_PAD src0_sel:DWORD src1_sel:WORD_1
	global_store_short v[4:5], v2, off
	s_mov_b64 s[4:5], 0
.LBB9_211:
	s_mov_b64 s[8:9], 0
.LBB9_212:
	s_and_b64 vcc, exec, s[8:9]
	s_cbranch_vccz .LBB9_215
; %bb.213:
	s_cmp_eq_u32 s13, 11
	s_mov_b64 s[4:5], -1
	s_cbranch_scc0 .LBB9_215
; %bb.214:
	v_cmp_neq_f64_e32 vcc, 0, v[0:1]
	s_mov_b64 s[4:5], 0
	s_mov_b64 s[6:7], -1
	v_cndmask_b32_e64 v2, 0, 1, vcc
	global_store_byte v[4:5], v2, off
.LBB9_215:
	s_branch .LBB9_137
.LBB9_216:
	s_and_b32 s8, 0xffff, s12
	s_cmp_lt_i32 s8, 5
	s_mov_b64 s[6:7], -1
	s_cbranch_scc1 .LBB9_237
; %bb.217:
	s_cmp_lt_i32 s8, 8
	s_cbranch_scc1 .LBB9_227
; %bb.218:
	s_cmp_lt_i32 s8, 9
	s_cbranch_scc1 .LBB9_224
; %bb.219:
	s_cmp_gt_i32 s8, 9
	s_cbranch_scc0 .LBB9_221
; %bb.220:
	v_mov_b32_e32 v2, 0
	v_mov_b32_e32 v3, v2
	s_mov_b64 s[6:7], 0
	global_store_dwordx4 v[4:5], v[0:3], off
.LBB9_221:
	s_andn2_b64 vcc, exec, s[6:7]
	s_cbranch_vccnz .LBB9_223
; %bb.222:
	v_cvt_f32_f64_e32 v2, v[0:1]
	v_mov_b32_e32 v3, 0
	global_store_dwordx2 v[4:5], v[2:3], off
.LBB9_223:
	s_mov_b64 s[6:7], 0
.LBB9_224:
	s_andn2_b64 vcc, exec, s[6:7]
	s_cbranch_vccnz .LBB9_226
; %bb.225:
	s_movk_i32 s6, 0x1ff
	v_and_or_b32 v2, v1, s6, v0
	v_cmp_ne_u32_e32 vcc, 0, v2
	v_cndmask_b32_e64 v2, 0, 1, vcc
	v_lshrrev_b32_e32 v3, 8, v1
	s_movk_i32 s6, 0xffe
	v_bfe_u32 v6, v1, 20, 11
	v_and_or_b32 v2, v3, s6, v2
	v_sub_u32_e32 v7, 0x3f1, v6
	v_or_b32_e32 v3, 0x1000, v2
	v_med3_i32 v7, v7, 0, 13
	v_lshrrev_b32_e32 v8, v7, v3
	v_lshlrev_b32_e32 v7, v7, v8
	v_cmp_ne_u32_e32 vcc, v7, v3
	v_cndmask_b32_e64 v3, 0, 1, vcc
	v_add_u32_e32 v6, 0xfffffc10, v6
	v_or_b32_e32 v3, v8, v3
	v_lshl_or_b32 v7, v6, 12, v2
	v_cmp_gt_i32_e32 vcc, 1, v6
	v_cndmask_b32_e32 v3, v7, v3, vcc
	v_and_b32_e32 v7, 7, v3
	v_cmp_lt_i32_e32 vcc, 5, v7
	v_cndmask_b32_e64 v8, 0, 1, vcc
	v_cmp_eq_u32_e32 vcc, 3, v7
	v_cndmask_b32_e64 v7, 0, 1, vcc
	v_or_b32_e32 v7, v7, v8
	v_lshrrev_b32_e32 v3, 2, v3
	v_add_u32_e32 v3, v3, v7
	v_mov_b32_e32 v7, 0x7c00
	v_cmp_gt_i32_e32 vcc, 31, v6
	v_cndmask_b32_e32 v3, v7, v3, vcc
	v_mov_b32_e32 v8, 0x7e00
	v_cmp_ne_u32_e32 vcc, 0, v2
	s_movk_i32 s6, 0x40f
	v_cndmask_b32_e32 v2, v7, v8, vcc
	v_cmp_eq_u32_e32 vcc, s6, v6
	v_cndmask_b32_e32 v2, v3, v2, vcc
	v_lshrrev_b32_e32 v3, 16, v1
	s_mov_b32 s6, 0x8000
	v_and_or_b32 v2, v3, s6, v2
	v_and_b32_e32 v2, 0xffff, v2
	global_store_dword v[4:5], v2, off
.LBB9_226:
	s_mov_b64 s[6:7], 0
.LBB9_227:
	s_andn2_b64 vcc, exec, s[6:7]
	s_cbranch_vccnz .LBB9_236
; %bb.228:
	s_cmp_lt_i32 s8, 6
	s_mov_b64 s[6:7], -1
	s_cbranch_scc1 .LBB9_234
; %bb.229:
	s_cmp_gt_i32 s8, 6
	s_cbranch_scc0 .LBB9_231
; %bb.230:
	s_mov_b64 s[6:7], 0
	global_store_dwordx2 v[4:5], v[0:1], off
.LBB9_231:
	s_andn2_b64 vcc, exec, s[6:7]
	s_cbranch_vccnz .LBB9_233
; %bb.232:
	v_cvt_f32_f64_e32 v2, v[0:1]
	global_store_dword v[4:5], v2, off
.LBB9_233:
	s_mov_b64 s[6:7], 0
.LBB9_234:
	s_andn2_b64 vcc, exec, s[6:7]
	s_cbranch_vccnz .LBB9_236
; %bb.235:
	s_movk_i32 s6, 0x1ff
	v_and_or_b32 v2, v1, s6, v0
	v_cmp_ne_u32_e32 vcc, 0, v2
	v_cndmask_b32_e64 v2, 0, 1, vcc
	v_lshrrev_b32_e32 v3, 8, v1
	s_movk_i32 s6, 0xffe
	v_bfe_u32 v6, v1, 20, 11
	v_and_or_b32 v2, v3, s6, v2
	v_sub_u32_e32 v7, 0x3f1, v6
	v_or_b32_e32 v3, 0x1000, v2
	v_med3_i32 v7, v7, 0, 13
	v_lshrrev_b32_e32 v8, v7, v3
	v_lshlrev_b32_e32 v7, v7, v8
	v_cmp_ne_u32_e32 vcc, v7, v3
	v_cndmask_b32_e64 v3, 0, 1, vcc
	v_add_u32_e32 v6, 0xfffffc10, v6
	v_or_b32_e32 v3, v8, v3
	v_lshl_or_b32 v7, v6, 12, v2
	v_cmp_gt_i32_e32 vcc, 1, v6
	v_cndmask_b32_e32 v3, v7, v3, vcc
	v_and_b32_e32 v7, 7, v3
	v_cmp_lt_i32_e32 vcc, 5, v7
	v_cndmask_b32_e64 v8, 0, 1, vcc
	v_cmp_eq_u32_e32 vcc, 3, v7
	v_cndmask_b32_e64 v7, 0, 1, vcc
	v_or_b32_e32 v7, v7, v8
	v_lshrrev_b32_e32 v3, 2, v3
	v_add_u32_e32 v3, v3, v7
	v_mov_b32_e32 v7, 0x7c00
	v_cmp_gt_i32_e32 vcc, 31, v6
	v_cndmask_b32_e32 v3, v7, v3, vcc
	v_mov_b32_e32 v8, 0x7e00
	v_cmp_ne_u32_e32 vcc, 0, v2
	s_movk_i32 s6, 0x40f
	v_cndmask_b32_e32 v2, v7, v8, vcc
	v_cmp_eq_u32_e32 vcc, s6, v6
	v_cndmask_b32_e32 v2, v3, v2, vcc
	v_lshrrev_b32_e32 v3, 16, v1
	s_mov_b32 s6, 0x8000
	v_and_or_b32 v2, v3, s6, v2
	global_store_short v[4:5], v2, off
.LBB9_236:
	s_mov_b64 s[6:7], 0
.LBB9_237:
	s_andn2_b64 vcc, exec, s[6:7]
	s_cbranch_vccnz .LBB9_253
; %bb.238:
	s_cmp_lt_i32 s8, 2
	s_mov_b64 s[6:7], -1
	s_cbranch_scc1 .LBB9_248
; %bb.239:
	s_cmp_lt_i32 s8, 3
	s_cbranch_scc1 .LBB9_245
; %bb.240:
	s_cmp_gt_i32 s8, 3
	s_cbranch_scc0 .LBB9_242
; %bb.241:
	v_trunc_f64_e32 v[2:3], v[0:1]
	s_movk_i32 s6, 0xffe0
	v_ldexp_f64 v[6:7], v[2:3], s6
	s_mov_b32 s6, 0
	s_mov_b32 s7, 0xc1f00000
	v_floor_f64_e32 v[6:7], v[6:7]
	v_fma_f64 v[2:3], v[6:7], s[6:7], v[2:3]
	v_cvt_i32_f64_e32 v7, v[6:7]
	s_mov_b64 s[6:7], 0
	v_cvt_u32_f64_e32 v6, v[2:3]
	global_store_dwordx2 v[4:5], v[6:7], off
.LBB9_242:
	s_andn2_b64 vcc, exec, s[6:7]
	s_cbranch_vccnz .LBB9_244
; %bb.243:
	v_cvt_i32_f64_e32 v2, v[0:1]
	global_store_dword v[4:5], v2, off
.LBB9_244:
	s_mov_b64 s[6:7], 0
.LBB9_245:
	s_andn2_b64 vcc, exec, s[6:7]
	s_cbranch_vccnz .LBB9_247
; %bb.246:
	v_cvt_i32_f64_e32 v2, v[0:1]
	global_store_short v[4:5], v2, off
.LBB9_247:
	s_mov_b64 s[6:7], 0
.LBB9_248:
	s_andn2_b64 vcc, exec, s[6:7]
	s_cbranch_vccnz .LBB9_253
; %bb.249:
	s_cmp_gt_i32 s8, 0
	s_mov_b64 s[6:7], -1
	s_cbranch_scc0 .LBB9_251
; %bb.250:
	v_cvt_i32_f64_e32 v2, v[0:1]
	s_mov_b64 s[6:7], 0
	global_store_byte v[4:5], v2, off
.LBB9_251:
	s_andn2_b64 vcc, exec, s[6:7]
	s_cbranch_vccnz .LBB9_253
; %bb.252:
	v_trunc_f64_e32 v[0:1], v[0:1]
	s_movk_i32 s6, 0xffe0
	v_ldexp_f64 v[2:3], v[0:1], s6
	s_mov_b32 s6, 0
	s_mov_b32 s7, 0xc1f00000
	v_floor_f64_e32 v[2:3], v[2:3]
	v_fma_f64 v[0:1], v[2:3], s[6:7], v[0:1]
	v_cvt_u32_f64_e32 v0, v[0:1]
	global_store_byte v[4:5], v0, off
.LBB9_253:
	s_branch .LBB9_138
.LBB9_254:
	s_mov_b64 s[6:7], 0
                                        ; implicit-def: $vgpr40
.LBB9_255:
	s_andn2_b64 s[8:9], s[52:53], exec
	s_and_b64 s[4:5], s[4:5], exec
	s_or_b64 s[58:59], s[8:9], s[4:5]
	s_orn2_b64 s[8:9], s[6:7], exec
.LBB9_256:
	s_or_b64 exec, exec, s[60:61]
	s_mov_b64 s[4:5], 0
	s_mov_b64 s[6:7], 0
                                        ; implicit-def: $sgpr14
                                        ; implicit-def: $vgpr4_vgpr5
                                        ; implicit-def: $vgpr0_vgpr1
	s_and_saveexec_b64 s[60:61], s[8:9]
	s_cbranch_execz .LBB9_471
; %bb.257:
	v_cmp_gt_i32_e32 vcc, s66, v40
	s_mov_b64 s[6:7], -1
	s_mov_b64 s[64:65], s[58:59]
	s_and_saveexec_b64 s[62:63], vcc
	s_cbranch_execz .LBB9_386
; %bb.258:
	s_getpc_b64 s[4:5]
	s_add_u32 s4, s4, _ZN2at6native6invokeIZZZNS0_12_GLOBAL__N_121bessel_y0_kernel_cudaERNS_18TensorIteratorBaseEENKUlvE_clEvENKUlvE_clEvEUldE_i15function_traitsIS7_EEENT1_11result_typeERKT_PrKPcPKT0_PKN3c1010ScalarTypeEi@rel32@lo+4
	s_addc_u32 s5, s5, _ZN2at6native6invokeIZZZNS0_12_GLOBAL__N_121bessel_y0_kernel_cudaERNS_18TensorIteratorBaseEENKUlvE_clEvENKUlvE_clEvEUldE_i15function_traitsIS7_EEENT1_11result_typeERKT_PrKPcPKT0_PKN3c1010ScalarTypeEi@rel32@hi+12
	v_mov_b32_e32 v0, s38
	v_mov_b32_e32 v1, s39
	;; [unrolled: 1-line block ×5, first 2 shown]
	s_swappc_b64 s[30:31], s[4:5]
	v_mul_lo_u32 v2, v40, s34
	v_mov_b32_e32 v3, s37
	s_and_b32 s12, s33, 0xff
	s_cmp_lt_i32 s12, 11
	v_ashrrev_i32_e32 v5, 31, v2
	v_add_co_u32_e32 v4, vcc, s36, v2
	v_addc_co_u32_e32 v5, vcc, v3, v5, vcc
	s_cbranch_scc1 .LBB9_265
; %bb.259:
	s_and_b32 s13, 0xffff, s12
	s_cmp_gt_i32 s13, 25
	s_cbranch_scc0 .LBB9_266
; %bb.260:
	s_cmp_gt_i32 s13, 28
	s_cbranch_scc0 .LBB9_267
; %bb.261:
	;; [unrolled: 3-line block ×4, first 2 shown]
	s_mov_b64 s[8:9], 0
	s_mov_b64 s[4:5], -1
	s_cmp_eq_u32 s13, 46
	s_mov_b64 s[6:7], 0
	s_cbranch_scc0 .LBB9_274
; %bb.264:
	v_cvt_f32_f64_e32 v2, v[0:1]
	s_movk_i32 s4, 0x7fff
	v_mov_b32_e32 v3, 0x7fc0
	s_mov_b64 s[6:7], -1
	v_bfe_u32 v6, v2, 16, 1
	v_cmp_o_f32_e32 vcc, v2, v2
	v_add3_u32 v2, v2, v6, s4
	v_cndmask_b32_sdwa v2, v3, v2, vcc dst_sel:DWORD dst_unused:UNUSED_PAD src0_sel:DWORD src1_sel:WORD_1
	global_store_dword v[4:5], v2, off
	s_mov_b64 s[4:5], 0
	s_branch .LBB9_274
.LBB9_265:
	s_mov_b64 s[8:9], -1
	s_mov_b64 s[6:7], 0
	s_mov_b64 s[4:5], s[58:59]
	s_branch .LBB9_343
.LBB9_266:
	s_mov_b64 s[8:9], -1
	s_mov_b64 s[6:7], 0
	s_mov_b64 s[4:5], s[58:59]
	s_branch .LBB9_301
.LBB9_267:
	s_mov_b64 s[8:9], -1
	s_mov_b64 s[6:7], 0
	s_mov_b64 s[4:5], s[58:59]
	s_branch .LBB9_284
.LBB9_268:
	s_andn2_saveexec_b64 s[10:11], s[10:11]
	s_cbranch_execz .LBB9_168
.LBB9_269:
	s_mov_b32 s14, 0x46000000
	v_add_f32_e64 v3, |v2|, s14
	v_and_b32_e32 v3, 0xff, v3
	v_cmp_ne_u32_e32 vcc, 0, v3
	s_andn2_b64 s[8:9], s[8:9], exec
	s_and_b64 s[14:15], vcc, exec
	s_or_b64 s[8:9], s[8:9], s[14:15]
	s_or_b64 exec, exec, s[10:11]
	v_mov_b32_e32 v6, 0
	s_and_saveexec_b64 s[10:11], s[8:9]
	s_cbranch_execnz .LBB9_169
	s_branch .LBB9_170
.LBB9_270:
	s_mov_b64 s[8:9], -1
	s_mov_b64 s[6:7], 0
	s_mov_b64 s[4:5], s[58:59]
	s_branch .LBB9_280
.LBB9_271:
	s_andn2_saveexec_b64 s[10:11], s[10:11]
	s_cbranch_execz .LBB9_181
.LBB9_272:
	s_mov_b32 s14, 0x42800000
	v_add_f32_e64 v3, |v2|, s14
	v_and_b32_e32 v3, 0xff, v3
	v_cmp_ne_u32_e32 vcc, 0, v3
	s_andn2_b64 s[8:9], s[8:9], exec
	s_and_b64 s[14:15], vcc, exec
	s_or_b64 s[8:9], s[8:9], s[14:15]
	s_or_b64 exec, exec, s[10:11]
	v_mov_b32_e32 v6, 0
	s_and_saveexec_b64 s[10:11], s[8:9]
	s_cbranch_execnz .LBB9_182
	s_branch .LBB9_183
.LBB9_273:
	s_mov_b64 s[8:9], -1
	s_mov_b64 s[6:7], 0
	s_mov_b64 s[4:5], s[58:59]
.LBB9_274:
	s_and_b64 vcc, exec, s[8:9]
	s_cbranch_vccz .LBB9_279
; %bb.275:
	s_cmp_eq_u32 s13, 44
	s_mov_b64 s[4:5], -1
	s_cbranch_scc0 .LBB9_279
; %bb.276:
	v_cvt_f32_f64_e32 v2, v[0:1]
	s_movk_i32 s4, 0xff
	v_mov_b32_e32 v6, 0xff
	v_bfe_u32 v3, v2, 23, 8
	v_cmp_ne_u32_e32 vcc, s4, v3
	s_and_saveexec_b64 s[6:7], vcc
; %bb.277:
	s_mov_b32 s4, 0x3fffff
	v_lshrrev_b32_e32 v6, 23, v2
	v_and_b32_e32 v7, 0x400000, v2
	v_and_or_b32 v2, v2, s4, v3
	v_cmp_ne_u32_e32 vcc, 0, v7
	v_cmp_ne_u32_e64 s[4:5], 0, v2
	s_and_b64 s[4:5], vcc, s[4:5]
	v_cndmask_b32_e64 v2, 0, 1, s[4:5]
	v_add_u32_e32 v6, v6, v2
; %bb.278:
	s_or_b64 exec, exec, s[6:7]
	s_mov_b64 s[6:7], -1
	s_mov_b64 s[4:5], 0
	global_store_byte v[4:5], v6, off
.LBB9_279:
	s_mov_b64 s[8:9], 0
.LBB9_280:
	s_and_b64 vcc, exec, s[8:9]
	s_cbranch_vccz .LBB9_283
; %bb.281:
	s_cmp_eq_u32 s13, 29
	s_mov_b64 s[4:5], -1
	s_cbranch_scc0 .LBB9_283
; %bb.282:
	v_trunc_f64_e32 v[2:3], v[0:1]
	s_movk_i32 s4, 0xffe0
	s_mov_b64 s[6:7], -1
	s_mov_b64 s[8:9], 0
	v_ldexp_f64 v[6:7], v[2:3], s4
	s_mov_b32 s4, 0
	s_mov_b32 s5, 0xc1f00000
	v_floor_f64_e32 v[6:7], v[6:7]
	v_fma_f64 v[2:3], v[6:7], s[4:5], v[2:3]
	v_cvt_u32_f64_e32 v7, v[6:7]
	s_mov_b64 s[4:5], 0
	v_cvt_u32_f64_e32 v6, v[2:3]
	global_store_dwordx2 v[4:5], v[6:7], off
	s_branch .LBB9_284
.LBB9_283:
	s_mov_b64 s[8:9], 0
.LBB9_284:
	s_and_b64 vcc, exec, s[8:9]
	s_cbranch_vccz .LBB9_300
; %bb.285:
	s_cmp_lt_i32 s13, 27
	s_mov_b64 s[6:7], -1
	s_cbranch_scc1 .LBB9_291
; %bb.286:
	v_cvt_u32_f64_e32 v2, v[0:1]
	s_cmp_gt_i32 s13, 27
	s_cbranch_scc0 .LBB9_288
; %bb.287:
	s_mov_b64 s[6:7], 0
	global_store_dword v[4:5], v2, off
.LBB9_288:
	s_andn2_b64 vcc, exec, s[6:7]
	s_cbranch_vccnz .LBB9_290
; %bb.289:
	global_store_short v[4:5], v2, off
.LBB9_290:
	s_mov_b64 s[6:7], 0
.LBB9_291:
	s_andn2_b64 vcc, exec, s[6:7]
	s_cbranch_vccnz .LBB9_299
; %bb.292:
	v_cvt_f32_f64_e32 v2, v[0:1]
	s_mov_b32 s6, 0x43800000
	v_mov_b32_e32 v6, 0x80
	v_and_b32_e32 v3, 0x7fffffff, v2
	v_cmp_gt_u32_e32 vcc, s6, v3
	s_and_saveexec_b64 s[6:7], vcc
	s_cbranch_execz .LBB9_298
; %bb.293:
	s_mov_b32 s8, 0x3bffffff
	v_cmp_lt_u32_e32 vcc, s8, v3
	s_mov_b64 s[8:9], 0
                                        ; implicit-def: $vgpr3
	s_and_saveexec_b64 s[10:11], vcc
	s_xor_b64 s[10:11], exec, s[10:11]
	s_cbranch_execz .LBB9_396
; %bb.294:
	v_bfe_u32 v3, v2, 20, 1
	s_mov_b32 s14, 0x487ffff
	v_add3_u32 v3, v2, v3, s14
	s_mov_b64 s[8:9], exec
	v_lshrrev_b32_e32 v3, 20, v3
	s_andn2_saveexec_b64 s[10:11], s[10:11]
	s_cbranch_execnz .LBB9_397
.LBB9_295:
	s_or_b64 exec, exec, s[10:11]
	v_mov_b32_e32 v6, 0
	s_and_saveexec_b64 s[10:11], s[8:9]
.LBB9_296:
	v_lshrrev_b32_e32 v2, 24, v2
	s_movk_i32 s8, 0x80
	v_and_or_b32 v6, v2, s8, v3
.LBB9_297:
	s_or_b64 exec, exec, s[10:11]
.LBB9_298:
	s_or_b64 exec, exec, s[6:7]
	global_store_byte v[4:5], v6, off
.LBB9_299:
	s_mov_b64 s[6:7], -1
.LBB9_300:
	s_mov_b64 s[8:9], 0
.LBB9_301:
	s_and_b64 vcc, exec, s[8:9]
	s_cbranch_vccz .LBB9_342
; %bb.302:
	s_cmp_gt_i32 s13, 22
	s_mov_b64 s[8:9], -1
	s_cbranch_scc0 .LBB9_334
; %bb.303:
	s_cmp_lt_i32 s13, 24
	s_mov_b64 s[6:7], -1
	s_cbranch_scc1 .LBB9_323
; %bb.304:
	s_cmp_gt_i32 s13, 24
	s_cbranch_scc0 .LBB9_312
; %bb.305:
	v_cvt_f32_f64_e32 v2, v[0:1]
	s_mov_b32 s6, 0x47800000
	v_mov_b32_e32 v6, 0x80
	v_and_b32_e32 v3, 0x7fffffff, v2
	v_cmp_gt_u32_e32 vcc, s6, v3
	s_and_saveexec_b64 s[6:7], vcc
	s_cbranch_execz .LBB9_311
; %bb.306:
	s_mov_b32 s8, 0x37ffffff
	v_cmp_lt_u32_e32 vcc, s8, v3
	s_mov_b64 s[8:9], 0
                                        ; implicit-def: $vgpr3
	s_and_saveexec_b64 s[10:11], vcc
	s_xor_b64 s[10:11], exec, s[10:11]
	s_cbranch_execz .LBB9_398
; %bb.307:
	v_bfe_u32 v3, v2, 21, 1
	s_mov_b32 s14, 0x88fffff
	v_add3_u32 v3, v2, v3, s14
	s_mov_b64 s[8:9], exec
	v_lshrrev_b32_e32 v3, 21, v3
	s_andn2_saveexec_b64 s[10:11], s[10:11]
	s_cbranch_execnz .LBB9_399
.LBB9_308:
	s_or_b64 exec, exec, s[10:11]
	v_mov_b32_e32 v6, 0
	s_and_saveexec_b64 s[10:11], s[8:9]
.LBB9_309:
	v_lshrrev_b32_e32 v2, 24, v2
	s_movk_i32 s8, 0x80
	v_and_or_b32 v6, v2, s8, v3
.LBB9_310:
	s_or_b64 exec, exec, s[10:11]
.LBB9_311:
	s_or_b64 exec, exec, s[6:7]
	s_mov_b64 s[6:7], 0
	global_store_byte v[4:5], v6, off
.LBB9_312:
	s_and_b64 vcc, exec, s[6:7]
	s_cbranch_vccz .LBB9_322
; %bb.313:
	v_cvt_f32_f64_e32 v2, v[0:1]
	s_mov_b32 s6, 0x43f00000
                                        ; implicit-def: $vgpr3
	v_and_b32_e32 v6, 0x7fffffff, v2
	v_cmp_gt_u32_e32 vcc, s6, v6
	s_and_saveexec_b64 s[6:7], vcc
	s_xor_b64 s[6:7], exec, s[6:7]
	s_cbranch_execz .LBB9_319
; %bb.314:
	s_mov_b32 s8, 0x3c7fffff
	v_cmp_lt_u32_e32 vcc, s8, v6
                                        ; implicit-def: $vgpr3
	s_and_saveexec_b64 s[8:9], vcc
	s_xor_b64 s[8:9], exec, s[8:9]
; %bb.315:
	v_bfe_u32 v3, v2, 20, 1
	s_mov_b32 s10, 0x407ffff
	v_add3_u32 v3, v2, v3, s10
	v_lshrrev_b32_e32 v6, 20, v3
	v_and_b32_e32 v3, 0xff00000, v3
	s_mov_b32 s10, 0x7f00000
	v_mov_b32_e32 v7, 0x7e
	v_cmp_ne_u32_e32 vcc, s10, v3
	v_cndmask_b32_e32 v3, v7, v6, vcc
; %bb.316:
	s_andn2_saveexec_b64 s[8:9], s[8:9]
; %bb.317:
	s_mov_b32 s10, 0x46800000
	v_add_f32_e64 v3, |v2|, s10
; %bb.318:
	s_or_b64 exec, exec, s[8:9]
                                        ; implicit-def: $vgpr6
.LBB9_319:
	s_andn2_saveexec_b64 s[6:7], s[6:7]
; %bb.320:
	s_mov_b32 s8, 0x7f800000
	v_mov_b32_e32 v3, 0x7e
	v_mov_b32_e32 v7, 0x7f
	v_cmp_lt_u32_e32 vcc, s8, v6
	v_cndmask_b32_e32 v3, v3, v7, vcc
; %bb.321:
	s_or_b64 exec, exec, s[6:7]
	v_lshrrev_b32_e32 v2, 24, v2
	s_movk_i32 s6, 0x80
	v_and_or_b32 v2, v2, s6, v3
	global_store_byte v[4:5], v2, off
.LBB9_322:
	s_mov_b64 s[6:7], 0
.LBB9_323:
	s_andn2_b64 vcc, exec, s[6:7]
	s_cbranch_vccnz .LBB9_333
; %bb.324:
	v_cvt_f32_f64_e32 v2, v[0:1]
	s_mov_b32 s6, 0x47800000
                                        ; implicit-def: $vgpr3
	v_and_b32_e32 v6, 0x7fffffff, v2
	v_cmp_gt_u32_e32 vcc, s6, v6
	s_and_saveexec_b64 s[6:7], vcc
	s_xor_b64 s[6:7], exec, s[6:7]
	s_cbranch_execz .LBB9_330
; %bb.325:
	s_mov_b32 s8, 0x387fffff
	v_cmp_lt_u32_e32 vcc, s8, v6
                                        ; implicit-def: $vgpr3
	s_and_saveexec_b64 s[8:9], vcc
	s_xor_b64 s[8:9], exec, s[8:9]
; %bb.326:
	v_bfe_u32 v3, v2, 21, 1
	s_mov_b32 s10, 0x80fffff
	v_add3_u32 v3, v2, v3, s10
	v_lshrrev_b32_e32 v3, 21, v3
; %bb.327:
	s_andn2_saveexec_b64 s[8:9], s[8:9]
; %bb.328:
	s_mov_b32 s10, 0x43000000
	v_add_f32_e64 v3, |v2|, s10
; %bb.329:
	s_or_b64 exec, exec, s[8:9]
                                        ; implicit-def: $vgpr6
.LBB9_330:
	s_andn2_saveexec_b64 s[6:7], s[6:7]
; %bb.331:
	s_mov_b32 s8, 0x7f800000
	v_mov_b32_e32 v3, 0x7c
	v_mov_b32_e32 v7, 0x7f
	v_cmp_lt_u32_e32 vcc, s8, v6
	v_cndmask_b32_e32 v3, v3, v7, vcc
; %bb.332:
	s_or_b64 exec, exec, s[6:7]
	v_lshrrev_b32_e32 v2, 24, v2
	s_movk_i32 s6, 0x80
	v_and_or_b32 v2, v2, s6, v3
	global_store_byte v[4:5], v2, off
.LBB9_333:
	s_mov_b64 s[8:9], 0
	s_mov_b64 s[6:7], -1
.LBB9_334:
	s_andn2_b64 vcc, exec, s[8:9]
	s_cbranch_vccnz .LBB9_342
; %bb.335:
	s_cmp_gt_i32 s13, 14
	s_mov_b64 s[8:9], -1
	s_cbranch_scc0 .LBB9_339
; %bb.336:
	s_cmp_eq_u32 s13, 15
	s_mov_b64 s[4:5], -1
	s_cbranch_scc0 .LBB9_338
; %bb.337:
	v_cvt_f32_f64_e32 v2, v[0:1]
	s_movk_i32 s4, 0x7fff
	v_mov_b32_e32 v3, 0x7fc0
	s_mov_b64 s[6:7], -1
	v_bfe_u32 v6, v2, 16, 1
	v_cmp_o_f32_e32 vcc, v2, v2
	v_add3_u32 v2, v2, v6, s4
	v_cndmask_b32_sdwa v2, v3, v2, vcc dst_sel:DWORD dst_unused:UNUSED_PAD src0_sel:DWORD src1_sel:WORD_1
	global_store_short v[4:5], v2, off
	s_mov_b64 s[4:5], 0
.LBB9_338:
	s_mov_b64 s[8:9], 0
.LBB9_339:
	s_and_b64 vcc, exec, s[8:9]
	s_cbranch_vccz .LBB9_342
; %bb.340:
	s_cmp_eq_u32 s13, 11
	s_mov_b64 s[4:5], -1
	s_cbranch_scc0 .LBB9_342
; %bb.341:
	v_cmp_neq_f64_e32 vcc, 0, v[0:1]
	s_mov_b64 s[4:5], 0
	s_mov_b64 s[6:7], -1
	v_cndmask_b32_e64 v2, 0, 1, vcc
	global_store_byte v[4:5], v2, off
.LBB9_342:
	s_mov_b64 s[8:9], 0
.LBB9_343:
	s_and_b64 vcc, exec, s[8:9]
	s_cbranch_vccz .LBB9_382
; %bb.344:
	s_and_b32 s8, 0xffff, s12
	s_cmp_lt_i32 s8, 5
	s_mov_b64 s[6:7], -1
	s_cbranch_scc1 .LBB9_365
; %bb.345:
	s_cmp_lt_i32 s8, 8
	s_cbranch_scc1 .LBB9_355
; %bb.346:
	s_cmp_lt_i32 s8, 9
	s_cbranch_scc1 .LBB9_352
; %bb.347:
	s_cmp_gt_i32 s8, 9
	s_cbranch_scc0 .LBB9_349
; %bb.348:
	v_mov_b32_e32 v2, 0
	v_mov_b32_e32 v3, v2
	s_mov_b64 s[6:7], 0
	global_store_dwordx4 v[4:5], v[0:3], off
.LBB9_349:
	s_andn2_b64 vcc, exec, s[6:7]
	s_cbranch_vccnz .LBB9_351
; %bb.350:
	v_cvt_f32_f64_e32 v2, v[0:1]
	v_mov_b32_e32 v3, 0
	global_store_dwordx2 v[4:5], v[2:3], off
.LBB9_351:
	s_mov_b64 s[6:7], 0
.LBB9_352:
	s_andn2_b64 vcc, exec, s[6:7]
	s_cbranch_vccnz .LBB9_354
; %bb.353:
	s_movk_i32 s6, 0x1ff
	v_and_or_b32 v2, v1, s6, v0
	v_cmp_ne_u32_e32 vcc, 0, v2
	v_cndmask_b32_e64 v2, 0, 1, vcc
	v_lshrrev_b32_e32 v3, 8, v1
	s_movk_i32 s6, 0xffe
	v_bfe_u32 v6, v1, 20, 11
	v_and_or_b32 v2, v3, s6, v2
	v_sub_u32_e32 v7, 0x3f1, v6
	v_or_b32_e32 v3, 0x1000, v2
	v_med3_i32 v7, v7, 0, 13
	v_lshrrev_b32_e32 v8, v7, v3
	v_lshlrev_b32_e32 v7, v7, v8
	v_cmp_ne_u32_e32 vcc, v7, v3
	v_cndmask_b32_e64 v3, 0, 1, vcc
	v_add_u32_e32 v6, 0xfffffc10, v6
	v_or_b32_e32 v3, v8, v3
	v_lshl_or_b32 v7, v6, 12, v2
	v_cmp_gt_i32_e32 vcc, 1, v6
	v_cndmask_b32_e32 v3, v7, v3, vcc
	v_and_b32_e32 v7, 7, v3
	v_cmp_lt_i32_e32 vcc, 5, v7
	v_cndmask_b32_e64 v8, 0, 1, vcc
	v_cmp_eq_u32_e32 vcc, 3, v7
	v_cndmask_b32_e64 v7, 0, 1, vcc
	v_or_b32_e32 v7, v7, v8
	v_lshrrev_b32_e32 v3, 2, v3
	v_add_u32_e32 v3, v3, v7
	v_mov_b32_e32 v7, 0x7c00
	v_cmp_gt_i32_e32 vcc, 31, v6
	v_cndmask_b32_e32 v3, v7, v3, vcc
	v_mov_b32_e32 v8, 0x7e00
	v_cmp_ne_u32_e32 vcc, 0, v2
	s_movk_i32 s6, 0x40f
	v_cndmask_b32_e32 v2, v7, v8, vcc
	v_cmp_eq_u32_e32 vcc, s6, v6
	v_cndmask_b32_e32 v2, v3, v2, vcc
	v_lshrrev_b32_e32 v3, 16, v1
	s_mov_b32 s6, 0x8000
	v_and_or_b32 v2, v3, s6, v2
	v_and_b32_e32 v2, 0xffff, v2
	global_store_dword v[4:5], v2, off
.LBB9_354:
	s_mov_b64 s[6:7], 0
.LBB9_355:
	s_andn2_b64 vcc, exec, s[6:7]
	s_cbranch_vccnz .LBB9_364
; %bb.356:
	s_cmp_lt_i32 s8, 6
	s_mov_b64 s[6:7], -1
	s_cbranch_scc1 .LBB9_362
; %bb.357:
	s_cmp_gt_i32 s8, 6
	s_cbranch_scc0 .LBB9_359
; %bb.358:
	s_mov_b64 s[6:7], 0
	global_store_dwordx2 v[4:5], v[0:1], off
.LBB9_359:
	s_andn2_b64 vcc, exec, s[6:7]
	s_cbranch_vccnz .LBB9_361
; %bb.360:
	v_cvt_f32_f64_e32 v2, v[0:1]
	global_store_dword v[4:5], v2, off
.LBB9_361:
	s_mov_b64 s[6:7], 0
.LBB9_362:
	s_andn2_b64 vcc, exec, s[6:7]
	s_cbranch_vccnz .LBB9_364
; %bb.363:
	s_movk_i32 s6, 0x1ff
	v_and_or_b32 v2, v1, s6, v0
	v_cmp_ne_u32_e32 vcc, 0, v2
	v_cndmask_b32_e64 v2, 0, 1, vcc
	v_lshrrev_b32_e32 v3, 8, v1
	s_movk_i32 s6, 0xffe
	v_bfe_u32 v6, v1, 20, 11
	v_and_or_b32 v2, v3, s6, v2
	v_sub_u32_e32 v7, 0x3f1, v6
	v_or_b32_e32 v3, 0x1000, v2
	v_med3_i32 v7, v7, 0, 13
	v_lshrrev_b32_e32 v8, v7, v3
	v_lshlrev_b32_e32 v7, v7, v8
	v_cmp_ne_u32_e32 vcc, v7, v3
	v_cndmask_b32_e64 v3, 0, 1, vcc
	v_add_u32_e32 v6, 0xfffffc10, v6
	v_or_b32_e32 v3, v8, v3
	v_lshl_or_b32 v7, v6, 12, v2
	v_cmp_gt_i32_e32 vcc, 1, v6
	v_cndmask_b32_e32 v3, v7, v3, vcc
	v_and_b32_e32 v7, 7, v3
	v_cmp_lt_i32_e32 vcc, 5, v7
	v_cndmask_b32_e64 v8, 0, 1, vcc
	v_cmp_eq_u32_e32 vcc, 3, v7
	v_cndmask_b32_e64 v7, 0, 1, vcc
	v_or_b32_e32 v7, v7, v8
	v_lshrrev_b32_e32 v3, 2, v3
	v_add_u32_e32 v3, v3, v7
	v_mov_b32_e32 v7, 0x7c00
	v_cmp_gt_i32_e32 vcc, 31, v6
	v_cndmask_b32_e32 v3, v7, v3, vcc
	v_mov_b32_e32 v8, 0x7e00
	v_cmp_ne_u32_e32 vcc, 0, v2
	s_movk_i32 s6, 0x40f
	v_cndmask_b32_e32 v2, v7, v8, vcc
	v_cmp_eq_u32_e32 vcc, s6, v6
	v_cndmask_b32_e32 v2, v3, v2, vcc
	v_lshrrev_b32_e32 v3, 16, v1
	s_mov_b32 s6, 0x8000
	v_and_or_b32 v2, v3, s6, v2
	global_store_short v[4:5], v2, off
.LBB9_364:
	s_mov_b64 s[6:7], 0
.LBB9_365:
	s_andn2_b64 vcc, exec, s[6:7]
	s_cbranch_vccnz .LBB9_381
; %bb.366:
	s_cmp_lt_i32 s8, 2
	s_mov_b64 s[6:7], -1
	s_cbranch_scc1 .LBB9_376
; %bb.367:
	s_cmp_lt_i32 s8, 3
	s_cbranch_scc1 .LBB9_373
; %bb.368:
	s_cmp_gt_i32 s8, 3
	s_cbranch_scc0 .LBB9_370
; %bb.369:
	v_trunc_f64_e32 v[2:3], v[0:1]
	s_movk_i32 s6, 0xffe0
	v_ldexp_f64 v[6:7], v[2:3], s6
	s_mov_b32 s6, 0
	s_mov_b32 s7, 0xc1f00000
	v_floor_f64_e32 v[6:7], v[6:7]
	v_fma_f64 v[2:3], v[6:7], s[6:7], v[2:3]
	v_cvt_i32_f64_e32 v7, v[6:7]
	s_mov_b64 s[6:7], 0
	v_cvt_u32_f64_e32 v6, v[2:3]
	global_store_dwordx2 v[4:5], v[6:7], off
.LBB9_370:
	s_andn2_b64 vcc, exec, s[6:7]
	s_cbranch_vccnz .LBB9_372
; %bb.371:
	v_cvt_i32_f64_e32 v2, v[0:1]
	global_store_dword v[4:5], v2, off
.LBB9_372:
	s_mov_b64 s[6:7], 0
.LBB9_373:
	s_andn2_b64 vcc, exec, s[6:7]
	s_cbranch_vccnz .LBB9_375
; %bb.374:
	v_cvt_i32_f64_e32 v2, v[0:1]
	global_store_short v[4:5], v2, off
.LBB9_375:
	s_mov_b64 s[6:7], 0
.LBB9_376:
	s_andn2_b64 vcc, exec, s[6:7]
	s_cbranch_vccnz .LBB9_381
; %bb.377:
	s_cmp_gt_i32 s8, 0
	s_mov_b64 s[6:7], -1
	s_cbranch_scc0 .LBB9_379
; %bb.378:
	v_cvt_i32_f64_e32 v2, v[0:1]
	s_mov_b64 s[6:7], 0
	global_store_byte v[4:5], v2, off
.LBB9_379:
	s_andn2_b64 vcc, exec, s[6:7]
	s_cbranch_vccnz .LBB9_381
; %bb.380:
	v_trunc_f64_e32 v[0:1], v[0:1]
	s_movk_i32 s6, 0xffe0
	v_ldexp_f64 v[2:3], v[0:1], s6
	s_mov_b32 s6, 0
	s_mov_b32 s7, 0xc1f00000
	v_floor_f64_e32 v[2:3], v[2:3]
	v_fma_f64 v[0:1], v[2:3], s[6:7], v[0:1]
	v_cvt_u32_f64_e32 v0, v[0:1]
	global_store_byte v[4:5], v0, off
.LBB9_381:
	s_mov_b64 s[6:7], -1
.LBB9_382:
	s_andn2_b64 vcc, exec, s[6:7]
	s_cbranch_vccnz .LBB9_384
; %bb.383:
	v_add_u32_e32 v40, 0x80, v40
	s_mov_b64 s[6:7], -1
	s_branch .LBB9_385
.LBB9_384:
	s_mov_b64 s[6:7], 0
                                        ; implicit-def: $vgpr40
.LBB9_385:
	s_andn2_b64 s[8:9], s[58:59], exec
	s_and_b64 s[4:5], s[4:5], exec
	s_or_b64 s[64:65], s[8:9], s[4:5]
	s_orn2_b64 s[6:7], s[6:7], exec
.LBB9_386:
	s_or_b64 exec, exec, s[62:63]
	s_mov_b64 s[4:5], 0
	s_mov_b64 s[10:11], 0
                                        ; implicit-def: $sgpr14
                                        ; implicit-def: $vgpr4_vgpr5
                                        ; implicit-def: $vgpr0_vgpr1
	s_and_saveexec_b64 s[62:63], s[6:7]
	s_cbranch_execz .LBB9_470
; %bb.387:
	v_cmp_gt_i32_e32 vcc, s66, v40
	s_mov_b64 s[6:7], 0
	s_mov_b64 s[8:9], s[64:65]
                                        ; implicit-def: $sgpr14
                                        ; implicit-def: $vgpr4_vgpr5
                                        ; implicit-def: $vgpr0_vgpr1
	s_and_saveexec_b64 s[66:67], vcc
	s_cbranch_execz .LBB9_469
; %bb.388:
	s_getpc_b64 s[4:5]
	s_add_u32 s4, s4, _ZN2at6native6invokeIZZZNS0_12_GLOBAL__N_121bessel_y0_kernel_cudaERNS_18TensorIteratorBaseEENKUlvE_clEvENKUlvE_clEvEUldE_i15function_traitsIS7_EEENT1_11result_typeERKT_PrKPcPKT0_PKN3c1010ScalarTypeEi@rel32@lo+4
	s_addc_u32 s5, s5, _ZN2at6native6invokeIZZZNS0_12_GLOBAL__N_121bessel_y0_kernel_cudaERNS_18TensorIteratorBaseEENKUlvE_clEvENKUlvE_clEvEUldE_i15function_traitsIS7_EEENT1_11result_typeERKT_PrKPcPKT0_PKN3c1010ScalarTypeEi@rel32@hi+12
	v_mov_b32_e32 v0, s38
	v_mov_b32_e32 v1, s39
	;; [unrolled: 1-line block ×5, first 2 shown]
	s_swappc_b64 s[30:31], s[4:5]
	v_mul_lo_u32 v2, v40, s34
	v_mov_b32_e32 v3, s37
	s_and_b32 s14, s33, 0xff
	s_cmp_lt_i32 s14, 11
	v_ashrrev_i32_e32 v5, 31, v2
	v_add_co_u32_e32 v4, vcc, s36, v2
	v_addc_co_u32_e32 v5, vcc, v3, v5, vcc
	s_cbranch_scc1 .LBB9_395
; %bb.389:
	s_and_b32 s15, 0xffff, s14
	s_mov_b64 s[8:9], -1
	s_cmp_gt_i32 s15, 25
	s_mov_b64 s[4:5], s[64:65]
	s_cbranch_scc0 .LBB9_427
; %bb.390:
	s_mov_b64 s[6:7], -1
	s_cmp_gt_i32 s15, 28
	s_mov_b64 s[4:5], s[64:65]
	s_cbranch_scc0 .LBB9_411
; %bb.391:
	s_cmp_gt_i32 s15, 43
	s_mov_b64 s[4:5], s[64:65]
	s_cbranch_scc0 .LBB9_407
; %bb.392:
	;; [unrolled: 4-line block ×3, first 2 shown]
	s_cmp_eq_u32 s15, 46
	s_mov_b64 s[4:5], -1
	s_cbranch_scc0 .LBB9_400
; %bb.394:
	v_cvt_f32_f64_e32 v2, v[0:1]
	s_movk_i32 s4, 0x7fff
	v_mov_b32_e32 v3, 0x7fc0
	s_mov_b64 s[6:7], 0
	v_bfe_u32 v6, v2, 16, 1
	v_cmp_o_f32_e32 vcc, v2, v2
	v_add3_u32 v2, v2, v6, s4
	v_cndmask_b32_sdwa v2, v3, v2, vcc dst_sel:DWORD dst_unused:UNUSED_PAD src0_sel:DWORD src1_sel:WORD_1
	global_store_dword v[4:5], v2, off
	s_mov_b64 s[4:5], 0
	s_branch .LBB9_401
.LBB9_395:
	s_mov_b64 s[8:9], 0
	s_mov_b64 s[6:7], -1
	s_mov_b64 s[4:5], s[64:65]
	s_branch .LBB9_468
.LBB9_396:
	s_andn2_saveexec_b64 s[10:11], s[10:11]
	s_cbranch_execz .LBB9_295
.LBB9_397:
	s_mov_b32 s14, 0x46000000
	v_add_f32_e64 v3, |v2|, s14
	v_and_b32_e32 v3, 0xff, v3
	v_cmp_ne_u32_e32 vcc, 0, v3
	s_andn2_b64 s[8:9], s[8:9], exec
	s_and_b64 s[14:15], vcc, exec
	s_or_b64 s[8:9], s[8:9], s[14:15]
	s_or_b64 exec, exec, s[10:11]
	v_mov_b32_e32 v6, 0
	s_and_saveexec_b64 s[10:11], s[8:9]
	s_cbranch_execnz .LBB9_296
	s_branch .LBB9_297
.LBB9_398:
	s_andn2_saveexec_b64 s[10:11], s[10:11]
	s_cbranch_execz .LBB9_308
.LBB9_399:
	s_mov_b32 s14, 0x42800000
	v_add_f32_e64 v3, |v2|, s14
	v_and_b32_e32 v3, 0xff, v3
	v_cmp_ne_u32_e32 vcc, 0, v3
	s_andn2_b64 s[8:9], s[8:9], exec
	s_and_b64 s[14:15], vcc, exec
	s_or_b64 s[8:9], s[8:9], s[14:15]
	s_or_b64 exec, exec, s[10:11]
	v_mov_b32_e32 v6, 0
	s_and_saveexec_b64 s[10:11], s[8:9]
	s_cbranch_execnz .LBB9_309
	s_branch .LBB9_310
.LBB9_400:
	s_mov_b64 s[6:7], 0
.LBB9_401:
	s_and_b64 vcc, exec, s[6:7]
	s_cbranch_vccz .LBB9_406
; %bb.402:
	s_cmp_eq_u32 s15, 44
	s_mov_b64 s[4:5], -1
	s_cbranch_scc0 .LBB9_406
; %bb.403:
	v_cvt_f32_f64_e32 v2, v[0:1]
	s_movk_i32 s4, 0xff
	v_mov_b32_e32 v6, 0xff
	v_bfe_u32 v3, v2, 23, 8
	v_cmp_ne_u32_e32 vcc, s4, v3
	s_and_saveexec_b64 s[6:7], vcc
; %bb.404:
	s_mov_b32 s4, 0x3fffff
	v_lshrrev_b32_e32 v6, 23, v2
	v_and_b32_e32 v7, 0x400000, v2
	v_and_or_b32 v2, v2, s4, v3
	v_cmp_ne_u32_e32 vcc, 0, v7
	v_cmp_ne_u32_e64 s[4:5], 0, v2
	s_and_b64 s[4:5], vcc, s[4:5]
	v_cndmask_b32_e64 v2, 0, 1, s[4:5]
	v_add_u32_e32 v6, v6, v2
; %bb.405:
	s_or_b64 exec, exec, s[6:7]
	s_mov_b64 s[4:5], 0
	global_store_byte v[4:5], v6, off
.LBB9_406:
	s_mov_b64 s[6:7], 0
.LBB9_407:
	s_and_b64 vcc, exec, s[6:7]
	s_cbranch_vccz .LBB9_410
; %bb.408:
	s_cmp_eq_u32 s15, 29
	s_mov_b64 s[4:5], -1
	s_cbranch_scc0 .LBB9_410
; %bb.409:
	v_trunc_f64_e32 v[2:3], v[0:1]
	s_movk_i32 s4, 0xffe0
	s_mov_b64 s[6:7], 0
	v_ldexp_f64 v[6:7], v[2:3], s4
	s_mov_b32 s4, 0
	s_mov_b32 s5, 0xc1f00000
	v_floor_f64_e32 v[6:7], v[6:7]
	v_fma_f64 v[2:3], v[6:7], s[4:5], v[2:3]
	v_cvt_u32_f64_e32 v7, v[6:7]
	s_mov_b64 s[4:5], 0
	v_cvt_u32_f64_e32 v6, v[2:3]
	global_store_dwordx2 v[4:5], v[6:7], off
	s_branch .LBB9_411
.LBB9_410:
	s_mov_b64 s[6:7], 0
.LBB9_411:
	s_and_b64 vcc, exec, s[6:7]
	s_cbranch_vccz .LBB9_426
; %bb.412:
	s_cmp_lt_i32 s15, 27
	s_mov_b64 s[6:7], -1
	s_cbranch_scc1 .LBB9_418
; %bb.413:
	v_cvt_u32_f64_e32 v2, v[0:1]
	s_cmp_gt_i32 s15, 27
	s_cbranch_scc0 .LBB9_415
; %bb.414:
	s_mov_b64 s[6:7], 0
	global_store_dword v[4:5], v2, off
.LBB9_415:
	s_andn2_b64 vcc, exec, s[6:7]
	s_cbranch_vccnz .LBB9_417
; %bb.416:
	global_store_short v[4:5], v2, off
.LBB9_417:
	s_mov_b64 s[6:7], 0
.LBB9_418:
	s_andn2_b64 vcc, exec, s[6:7]
	s_cbranch_vccnz .LBB9_426
; %bb.419:
	v_cvt_f32_f64_e32 v2, v[0:1]
	s_mov_b32 s6, 0x43800000
	v_mov_b32_e32 v6, 0x80
	v_and_b32_e32 v3, 0x7fffffff, v2
	v_cmp_gt_u32_e32 vcc, s6, v3
	s_and_saveexec_b64 s[6:7], vcc
	s_cbranch_execz .LBB9_425
; %bb.420:
	s_mov_b32 s8, 0x3bffffff
	v_cmp_lt_u32_e32 vcc, s8, v3
	s_mov_b64 s[8:9], 0
                                        ; implicit-def: $vgpr3
	s_and_saveexec_b64 s[10:11], vcc
	s_xor_b64 s[10:11], exec, s[10:11]
	s_cbranch_execz .LBB9_1007
; %bb.421:
	v_bfe_u32 v3, v2, 20, 1
	s_mov_b32 s12, 0x487ffff
	v_add3_u32 v3, v2, v3, s12
	s_mov_b64 s[8:9], exec
	v_lshrrev_b32_e32 v3, 20, v3
	s_andn2_saveexec_b64 s[10:11], s[10:11]
	s_cbranch_execnz .LBB9_1008
.LBB9_422:
	s_or_b64 exec, exec, s[10:11]
	v_mov_b32_e32 v6, 0
	s_and_saveexec_b64 s[10:11], s[8:9]
.LBB9_423:
	v_lshrrev_b32_e32 v2, 24, v2
	s_movk_i32 s8, 0x80
	v_and_or_b32 v6, v2, s8, v3
.LBB9_424:
	s_or_b64 exec, exec, s[10:11]
.LBB9_425:
	s_or_b64 exec, exec, s[6:7]
	global_store_byte v[4:5], v6, off
.LBB9_426:
	s_mov_b64 s[8:9], 0
.LBB9_427:
	s_mov_b64 s[6:7], 0
	s_and_b64 vcc, exec, s[8:9]
	s_cbranch_vccz .LBB9_467
; %bb.428:
	s_cmp_gt_i32 s15, 22
	s_mov_b64 s[8:9], -1
	s_cbranch_scc0 .LBB9_460
; %bb.429:
	s_cmp_lt_i32 s15, 24
	s_cbranch_scc1 .LBB9_449
; %bb.430:
	s_cmp_gt_i32 s15, 24
	s_cbranch_scc0 .LBB9_438
; %bb.431:
	v_cvt_f32_f64_e32 v2, v[0:1]
	s_mov_b32 s8, 0x47800000
	v_mov_b32_e32 v6, 0x80
	v_and_b32_e32 v3, 0x7fffffff, v2
	v_cmp_gt_u32_e32 vcc, s8, v3
	s_and_saveexec_b64 s[8:9], vcc
	s_cbranch_execz .LBB9_437
; %bb.432:
	s_mov_b32 s10, 0x37ffffff
	v_cmp_lt_u32_e32 vcc, s10, v3
	s_mov_b64 s[10:11], 0
                                        ; implicit-def: $vgpr3
	s_and_saveexec_b64 s[12:13], vcc
	s_xor_b64 s[12:13], exec, s[12:13]
	s_cbranch_execz .LBB9_1011
; %bb.433:
	v_bfe_u32 v3, v2, 21, 1
	s_mov_b32 s16, 0x88fffff
	v_add3_u32 v3, v2, v3, s16
	s_mov_b64 s[10:11], exec
	v_lshrrev_b32_e32 v3, 21, v3
	s_andn2_saveexec_b64 s[12:13], s[12:13]
	s_cbranch_execnz .LBB9_1012
.LBB9_434:
	s_or_b64 exec, exec, s[12:13]
	v_mov_b32_e32 v6, 0
	s_and_saveexec_b64 s[12:13], s[10:11]
.LBB9_435:
	v_lshrrev_b32_e32 v2, 24, v2
	s_movk_i32 s10, 0x80
	v_and_or_b32 v6, v2, s10, v3
.LBB9_436:
	s_or_b64 exec, exec, s[12:13]
.LBB9_437:
	s_or_b64 exec, exec, s[8:9]
	s_mov_b64 s[8:9], 0
	global_store_byte v[4:5], v6, off
.LBB9_438:
	s_and_b64 vcc, exec, s[8:9]
	s_cbranch_vccz .LBB9_448
; %bb.439:
	v_cvt_f32_f64_e32 v2, v[0:1]
	s_mov_b32 s8, 0x43f00000
                                        ; implicit-def: $vgpr3
	v_and_b32_e32 v6, 0x7fffffff, v2
	v_cmp_gt_u32_e32 vcc, s8, v6
	s_and_saveexec_b64 s[8:9], vcc
	s_xor_b64 s[8:9], exec, s[8:9]
	s_cbranch_execz .LBB9_445
; %bb.440:
	s_mov_b32 s10, 0x3c7fffff
	v_cmp_lt_u32_e32 vcc, s10, v6
                                        ; implicit-def: $vgpr3
	s_and_saveexec_b64 s[10:11], vcc
	s_xor_b64 s[10:11], exec, s[10:11]
; %bb.441:
	v_bfe_u32 v3, v2, 20, 1
	s_mov_b32 s12, 0x407ffff
	v_add3_u32 v3, v2, v3, s12
	v_lshrrev_b32_e32 v6, 20, v3
	v_and_b32_e32 v3, 0xff00000, v3
	s_mov_b32 s12, 0x7f00000
	v_mov_b32_e32 v7, 0x7e
	v_cmp_ne_u32_e32 vcc, s12, v3
	v_cndmask_b32_e32 v3, v7, v6, vcc
; %bb.442:
	s_andn2_saveexec_b64 s[10:11], s[10:11]
; %bb.443:
	s_mov_b32 s12, 0x46800000
	v_add_f32_e64 v3, |v2|, s12
; %bb.444:
	s_or_b64 exec, exec, s[10:11]
                                        ; implicit-def: $vgpr6
.LBB9_445:
	s_andn2_saveexec_b64 s[8:9], s[8:9]
; %bb.446:
	s_mov_b32 s10, 0x7f800000
	v_mov_b32_e32 v3, 0x7e
	v_mov_b32_e32 v7, 0x7f
	v_cmp_lt_u32_e32 vcc, s10, v6
	v_cndmask_b32_e32 v3, v3, v7, vcc
; %bb.447:
	s_or_b64 exec, exec, s[8:9]
	v_lshrrev_b32_e32 v2, 24, v2
	s_movk_i32 s8, 0x80
	v_and_or_b32 v2, v2, s8, v3
	global_store_byte v[4:5], v2, off
.LBB9_448:
	s_mov_b64 s[8:9], 0
.LBB9_449:
	s_andn2_b64 vcc, exec, s[8:9]
	s_cbranch_vccnz .LBB9_459
; %bb.450:
	v_cvt_f32_f64_e32 v2, v[0:1]
	s_mov_b32 s8, 0x47800000
                                        ; implicit-def: $vgpr3
	v_and_b32_e32 v6, 0x7fffffff, v2
	v_cmp_gt_u32_e32 vcc, s8, v6
	s_and_saveexec_b64 s[8:9], vcc
	s_xor_b64 s[8:9], exec, s[8:9]
	s_cbranch_execz .LBB9_456
; %bb.451:
	s_mov_b32 s10, 0x387fffff
	v_cmp_lt_u32_e32 vcc, s10, v6
                                        ; implicit-def: $vgpr3
	s_and_saveexec_b64 s[10:11], vcc
	s_xor_b64 s[10:11], exec, s[10:11]
; %bb.452:
	v_bfe_u32 v3, v2, 21, 1
	s_mov_b32 s12, 0x80fffff
	v_add3_u32 v3, v2, v3, s12
	v_lshrrev_b32_e32 v3, 21, v3
; %bb.453:
	s_andn2_saveexec_b64 s[10:11], s[10:11]
; %bb.454:
	s_mov_b32 s12, 0x43000000
	v_add_f32_e64 v3, |v2|, s12
; %bb.455:
	s_or_b64 exec, exec, s[10:11]
                                        ; implicit-def: $vgpr6
.LBB9_456:
	s_andn2_saveexec_b64 s[8:9], s[8:9]
; %bb.457:
	s_mov_b32 s10, 0x7f800000
	v_mov_b32_e32 v3, 0x7c
	v_mov_b32_e32 v7, 0x7f
	v_cmp_lt_u32_e32 vcc, s10, v6
	v_cndmask_b32_e32 v3, v3, v7, vcc
; %bb.458:
	s_or_b64 exec, exec, s[8:9]
	v_lshrrev_b32_e32 v2, 24, v2
	s_movk_i32 s8, 0x80
	v_and_or_b32 v2, v2, s8, v3
	global_store_byte v[4:5], v2, off
.LBB9_459:
	s_mov_b64 s[8:9], 0
.LBB9_460:
	s_andn2_b64 vcc, exec, s[8:9]
	s_mov_b64 s[8:9], 0
	s_cbranch_vccnz .LBB9_468
; %bb.461:
	s_cmp_gt_i32 s15, 14
	s_mov_b64 s[10:11], -1
	s_cbranch_scc0 .LBB9_465
; %bb.462:
	s_cmp_eq_u32 s15, 15
	s_mov_b64 s[4:5], -1
	s_cbranch_scc0 .LBB9_464
; %bb.463:
	v_cvt_f32_f64_e32 v2, v[0:1]
	s_movk_i32 s4, 0x7fff
	v_mov_b32_e32 v3, 0x7fc0
	v_bfe_u32 v6, v2, 16, 1
	v_cmp_o_f32_e32 vcc, v2, v2
	v_add3_u32 v2, v2, v6, s4
	v_cndmask_b32_sdwa v2, v3, v2, vcc dst_sel:DWORD dst_unused:UNUSED_PAD src0_sel:DWORD src1_sel:WORD_1
	global_store_short v[4:5], v2, off
	s_mov_b64 s[4:5], 0
.LBB9_464:
	s_mov_b64 s[10:11], 0
.LBB9_465:
	s_and_b64 vcc, exec, s[10:11]
	s_cbranch_vccz .LBB9_468
; %bb.466:
	s_cmp_lg_u32 s15, 11
	s_cselect_b64 s[10:11], -1, 0
	s_andn2_b64 s[4:5], s[4:5], exec
	s_and_b64 s[10:11], s[10:11], exec
	s_mov_b64 s[8:9], -1
	s_or_b64 s[4:5], s[4:5], s[10:11]
	s_branch .LBB9_468
.LBB9_467:
	s_mov_b64 s[8:9], 0
.LBB9_468:
	s_and_b64 s[10:11], s[6:7], exec
	s_and_b64 s[6:7], s[8:9], exec
	s_andn2_b64 s[8:9], s[64:65], exec
	s_and_b64 s[4:5], s[4:5], exec
	s_or_b64 s[8:9], s[8:9], s[4:5]
.LBB9_469:
	s_or_b64 exec, exec, s[66:67]
	s_and_b64 s[4:5], s[6:7], exec
	s_andn2_b64 s[6:7], s[64:65], exec
	s_and_b64 s[8:9], s[8:9], exec
	s_and_b64 s[10:11], s[10:11], exec
	s_or_b64 s[64:65], s[6:7], s[8:9]
.LBB9_470:
	s_or_b64 exec, exec, s[62:63]
	s_and_b64 s[6:7], s[10:11], exec
	s_andn2_b64 s[8:9], s[58:59], exec
	s_and_b64 s[10:11], s[64:65], exec
	s_and_b64 s[4:5], s[4:5], exec
	s_or_b64 s[58:59], s[8:9], s[10:11]
.LBB9_471:
	s_or_b64 exec, exec, s[60:61]
	s_and_b64 s[60:61], s[4:5], exec
	s_andn2_b64 s[4:5], s[52:53], exec
	s_and_b64 s[8:9], s[58:59], exec
	s_and_b64 s[6:7], s[6:7], exec
	s_or_b64 s[52:53], s[4:5], s[8:9]
	s_or_b64 exec, exec, s[54:55]
	s_mov_b64 s[4:5], 0
	s_and_saveexec_b64 s[8:9], s[52:53]
	s_cbranch_execz .LBB9_134
.LBB9_472:
	s_mov_b64 s[4:5], exec
	s_andn2_b64 s[60:61], s[60:61], exec
	s_trap 2
	s_or_b64 exec, exec, s[8:9]
	s_and_saveexec_b64 s[8:9], s[60:61]
	s_xor_b64 s[8:9], exec, s[8:9]
	s_cbranch_execnz .LBB9_135
.LBB9_473:
	s_or_b64 exec, exec, s[8:9]
	s_and_saveexec_b64 s[8:9], s[6:7]
	s_xor_b64 s[6:7], exec, s[8:9]
	s_cbranch_execz .LBB9_511
.LBB9_474:
	s_sext_i32_i16 s10, s14
	s_cmp_lt_i32 s10, 5
	s_mov_b64 s[8:9], -1
	s_cbranch_scc1 .LBB9_495
; %bb.475:
	s_cmp_lt_i32 s10, 8
	s_cbranch_scc1 .LBB9_485
; %bb.476:
	s_cmp_lt_i32 s10, 9
	s_cbranch_scc1 .LBB9_482
; %bb.477:
	s_cmp_gt_i32 s10, 9
	s_cbranch_scc0 .LBB9_479
; %bb.478:
	v_mov_b32_e32 v2, 0
	v_mov_b32_e32 v3, v2
	s_mov_b64 s[8:9], 0
	global_store_dwordx4 v[4:5], v[0:3], off
.LBB9_479:
	s_andn2_b64 vcc, exec, s[8:9]
	s_cbranch_vccnz .LBB9_481
; %bb.480:
	v_cvt_f32_f64_e32 v2, v[0:1]
	v_mov_b32_e32 v3, 0
	global_store_dwordx2 v[4:5], v[2:3], off
.LBB9_481:
	s_mov_b64 s[8:9], 0
.LBB9_482:
	s_andn2_b64 vcc, exec, s[8:9]
	s_cbranch_vccnz .LBB9_484
; %bb.483:
	s_movk_i32 s8, 0x1ff
	v_and_or_b32 v2, v1, s8, v0
	v_cmp_ne_u32_e32 vcc, 0, v2
	v_cndmask_b32_e64 v2, 0, 1, vcc
	v_lshrrev_b32_e32 v3, 8, v1
	s_movk_i32 s8, 0xffe
	v_bfe_u32 v6, v1, 20, 11
	v_and_or_b32 v2, v3, s8, v2
	v_sub_u32_e32 v7, 0x3f1, v6
	v_or_b32_e32 v3, 0x1000, v2
	v_med3_i32 v7, v7, 0, 13
	v_lshrrev_b32_e32 v8, v7, v3
	v_lshlrev_b32_e32 v7, v7, v8
	v_cmp_ne_u32_e32 vcc, v7, v3
	v_cndmask_b32_e64 v3, 0, 1, vcc
	v_add_u32_e32 v6, 0xfffffc10, v6
	v_or_b32_e32 v3, v8, v3
	v_lshl_or_b32 v7, v6, 12, v2
	v_cmp_gt_i32_e32 vcc, 1, v6
	v_cndmask_b32_e32 v3, v7, v3, vcc
	v_and_b32_e32 v7, 7, v3
	v_cmp_lt_i32_e32 vcc, 5, v7
	v_cndmask_b32_e64 v8, 0, 1, vcc
	v_cmp_eq_u32_e32 vcc, 3, v7
	v_cndmask_b32_e64 v7, 0, 1, vcc
	v_or_b32_e32 v7, v7, v8
	v_lshrrev_b32_e32 v3, 2, v3
	v_add_u32_e32 v3, v3, v7
	v_mov_b32_e32 v7, 0x7c00
	v_cmp_gt_i32_e32 vcc, 31, v6
	v_cndmask_b32_e32 v3, v7, v3, vcc
	v_mov_b32_e32 v8, 0x7e00
	v_cmp_ne_u32_e32 vcc, 0, v2
	s_movk_i32 s8, 0x40f
	v_cndmask_b32_e32 v2, v7, v8, vcc
	v_cmp_eq_u32_e32 vcc, s8, v6
	v_cndmask_b32_e32 v2, v3, v2, vcc
	v_lshrrev_b32_e32 v3, 16, v1
	s_mov_b32 s8, 0x8000
	v_and_or_b32 v2, v3, s8, v2
	v_and_b32_e32 v2, 0xffff, v2
	global_store_dword v[4:5], v2, off
.LBB9_484:
	s_mov_b64 s[8:9], 0
.LBB9_485:
	s_andn2_b64 vcc, exec, s[8:9]
	s_cbranch_vccnz .LBB9_494
; %bb.486:
	s_sext_i32_i16 s10, s14
	s_cmp_lt_i32 s10, 6
	s_mov_b64 s[8:9], -1
	s_cbranch_scc1 .LBB9_492
; %bb.487:
	s_cmp_gt_i32 s10, 6
	s_cbranch_scc0 .LBB9_489
; %bb.488:
	s_mov_b64 s[8:9], 0
	global_store_dwordx2 v[4:5], v[0:1], off
.LBB9_489:
	s_andn2_b64 vcc, exec, s[8:9]
	s_cbranch_vccnz .LBB9_491
; %bb.490:
	v_cvt_f32_f64_e32 v2, v[0:1]
	global_store_dword v[4:5], v2, off
.LBB9_491:
	s_mov_b64 s[8:9], 0
.LBB9_492:
	s_andn2_b64 vcc, exec, s[8:9]
	s_cbranch_vccnz .LBB9_494
; %bb.493:
	s_movk_i32 s8, 0x1ff
	v_and_or_b32 v2, v1, s8, v0
	v_cmp_ne_u32_e32 vcc, 0, v2
	v_cndmask_b32_e64 v2, 0, 1, vcc
	v_lshrrev_b32_e32 v3, 8, v1
	s_movk_i32 s8, 0xffe
	v_bfe_u32 v6, v1, 20, 11
	v_and_or_b32 v2, v3, s8, v2
	v_sub_u32_e32 v7, 0x3f1, v6
	v_or_b32_e32 v3, 0x1000, v2
	v_med3_i32 v7, v7, 0, 13
	v_lshrrev_b32_e32 v8, v7, v3
	v_lshlrev_b32_e32 v7, v7, v8
	v_cmp_ne_u32_e32 vcc, v7, v3
	v_cndmask_b32_e64 v3, 0, 1, vcc
	v_add_u32_e32 v6, 0xfffffc10, v6
	v_or_b32_e32 v3, v8, v3
	v_lshl_or_b32 v7, v6, 12, v2
	v_cmp_gt_i32_e32 vcc, 1, v6
	v_cndmask_b32_e32 v3, v7, v3, vcc
	v_and_b32_e32 v7, 7, v3
	v_cmp_lt_i32_e32 vcc, 5, v7
	v_cndmask_b32_e64 v8, 0, 1, vcc
	v_cmp_eq_u32_e32 vcc, 3, v7
	v_cndmask_b32_e64 v7, 0, 1, vcc
	v_or_b32_e32 v7, v7, v8
	v_lshrrev_b32_e32 v3, 2, v3
	v_add_u32_e32 v3, v3, v7
	v_mov_b32_e32 v7, 0x7c00
	v_cmp_gt_i32_e32 vcc, 31, v6
	v_cndmask_b32_e32 v3, v7, v3, vcc
	v_mov_b32_e32 v8, 0x7e00
	v_cmp_ne_u32_e32 vcc, 0, v2
	s_movk_i32 s8, 0x40f
	v_cndmask_b32_e32 v2, v7, v8, vcc
	v_cmp_eq_u32_e32 vcc, s8, v6
	v_cndmask_b32_e32 v2, v3, v2, vcc
	v_lshrrev_b32_e32 v3, 16, v1
	s_mov_b32 s8, 0x8000
	v_and_or_b32 v2, v3, s8, v2
	global_store_short v[4:5], v2, off
.LBB9_494:
	s_mov_b64 s[8:9], 0
.LBB9_495:
	s_andn2_b64 vcc, exec, s[8:9]
	s_cbranch_vccnz .LBB9_511
; %bb.496:
	s_sext_i32_i16 s10, s14
	s_cmp_lt_i32 s10, 2
	s_mov_b64 s[8:9], -1
	s_cbranch_scc1 .LBB9_506
; %bb.497:
	s_cmp_lt_i32 s10, 3
	s_cbranch_scc1 .LBB9_503
; %bb.498:
	s_cmp_gt_i32 s10, 3
	s_cbranch_scc0 .LBB9_500
; %bb.499:
	v_trunc_f64_e32 v[2:3], v[0:1]
	s_movk_i32 s8, 0xffe0
	v_ldexp_f64 v[6:7], v[2:3], s8
	s_mov_b32 s8, 0
	s_mov_b32 s9, 0xc1f00000
	v_floor_f64_e32 v[6:7], v[6:7]
	v_fma_f64 v[2:3], v[6:7], s[8:9], v[2:3]
	v_cvt_i32_f64_e32 v7, v[6:7]
	s_mov_b64 s[8:9], 0
	v_cvt_u32_f64_e32 v6, v[2:3]
	global_store_dwordx2 v[4:5], v[6:7], off
.LBB9_500:
	s_andn2_b64 vcc, exec, s[8:9]
	s_cbranch_vccnz .LBB9_502
; %bb.501:
	v_cvt_i32_f64_e32 v2, v[0:1]
	global_store_dword v[4:5], v2, off
.LBB9_502:
	s_mov_b64 s[8:9], 0
.LBB9_503:
	s_andn2_b64 vcc, exec, s[8:9]
	s_cbranch_vccnz .LBB9_505
; %bb.504:
	v_cvt_i32_f64_e32 v2, v[0:1]
	global_store_short v[4:5], v2, off
.LBB9_505:
	s_mov_b64 s[8:9], 0
.LBB9_506:
	s_andn2_b64 vcc, exec, s[8:9]
	s_cbranch_vccnz .LBB9_511
; %bb.507:
	s_sext_i32_i16 s8, s14
	s_cmp_gt_i32 s8, 0
	s_mov_b64 s[8:9], -1
	s_cbranch_scc0 .LBB9_509
; %bb.508:
	v_cvt_i32_f64_e32 v2, v[0:1]
	s_mov_b64 s[8:9], 0
	global_store_byte v[4:5], v2, off
.LBB9_509:
	s_andn2_b64 vcc, exec, s[8:9]
	s_cbranch_vccnz .LBB9_511
; %bb.510:
	v_trunc_f64_e32 v[0:1], v[0:1]
	s_movk_i32 s8, 0xffe0
	v_ldexp_f64 v[2:3], v[0:1], s8
	s_mov_b32 s8, 0
	s_mov_b32 s9, 0xc1f00000
	v_floor_f64_e32 v[2:3], v[2:3]
	v_fma_f64 v[0:1], v[2:3], s[8:9], v[0:1]
	v_cvt_u32_f64_e32 v0, v[0:1]
	global_store_byte v[4:5], v0, off
.LBB9_511:
	s_or_b64 exec, exec, s[6:7]
	s_and_b64 s[52:53], s[4:5], exec
                                        ; implicit-def: $vgpr40
                                        ; implicit-def: $vgpr41
                                        ; implicit-def: $vgpr42
.LBB9_512:
	s_or_saveexec_b64 s[50:51], s[50:51]
	s_mov_b64 s[4:5], 0
                                        ; implicit-def: $sgpr16
                                        ; implicit-def: $vgpr4_vgpr5
                                        ; implicit-def: $vgpr0_vgpr1
	s_xor_b64 exec, exec, s[50:51]
	s_cbranch_execz .LBB9_945
; %bb.513:
	s_getpc_b64 s[48:49]
	s_add_u32 s48, s48, _ZN2at6native6invokeIZZZNS0_12_GLOBAL__N_121bessel_y0_kernel_cudaERNS_18TensorIteratorBaseEENKUlvE_clEvENKUlvE_clEvEUldE_i15function_traitsIS7_EEENT1_11result_typeERKT_PrKPcPKT0_PKN3c1010ScalarTypeEi@rel32@lo+4
	s_addc_u32 s49, s49, _ZN2at6native6invokeIZZZNS0_12_GLOBAL__N_121bessel_y0_kernel_cudaERNS_18TensorIteratorBaseEENKUlvE_clEvENKUlvE_clEvEUldE_i15function_traitsIS7_EEENT1_11result_typeERKT_PrKPcPKT0_PKN3c1010ScalarTypeEi@rel32@hi+12
	v_mov_b32_e32 v0, s38
	v_mov_b32_e32 v1, s39
	;; [unrolled: 1-line block ×5, first 2 shown]
	v_add_u32_e32 v43, 0x80, v40
	v_add_u32_e32 v44, 0x100, v40
	s_swappc_b64 s[30:31], s[48:49]
	buffer_store_dword v0, off, s[0:3], 0   ; 4-byte Folded Spill
	s_nop 0
	buffer_store_dword v1, off, s[0:3], 0 offset:4 ; 4-byte Folded Spill
	buffer_store_dword v2, off, s[0:3], 0 offset:8 ; 4-byte Folded Spill
	;; [unrolled: 1-line block ×3, first 2 shown]
	v_mov_b32_e32 v0, s38
	v_mov_b32_e32 v1, s39
	;; [unrolled: 1-line block ×5, first 2 shown]
	s_swappc_b64 s[30:31], s[48:49]
	buffer_store_dword v0, off, s[0:3], 0 offset:16 ; 4-byte Folded Spill
	s_nop 0
	buffer_store_dword v1, off, s[0:3], 0 offset:20 ; 4-byte Folded Spill
	buffer_store_dword v2, off, s[0:3], 0 offset:24 ; 4-byte Folded Spill
	;; [unrolled: 1-line block ×3, first 2 shown]
	v_mov_b32_e32 v0, s38
	v_mov_b32_e32 v1, s39
	;; [unrolled: 1-line block ×5, first 2 shown]
	s_swappc_b64 s[30:31], s[48:49]
	buffer_store_dword v0, off, s[0:3], 0 offset:32 ; 4-byte Folded Spill
	s_nop 0
	buffer_store_dword v1, off, s[0:3], 0 offset:36 ; 4-byte Folded Spill
	buffer_store_dword v2, off, s[0:3], 0 offset:40 ; 4-byte Folded Spill
	;; [unrolled: 1-line block ×3, first 2 shown]
	v_mov_b32_e32 v0, s38
	v_mov_b32_e32 v1, s39
	;; [unrolled: 1-line block ×5, first 2 shown]
	s_swappc_b64 s[30:31], s[48:49]
	buffer_load_dword v10, off, s[0:3], 0   ; 4-byte Folded Reload
	buffer_load_dword v11, off, s[0:3], 0 offset:4 ; 4-byte Folded Reload
	buffer_load_dword v12, off, s[0:3], 0 offset:8 ; 4-byte Folded Reload
	;; [unrolled: 1-line block ×3, first 2 shown]
	v_mul_lo_u32 v4, s34, v40
	v_mov_b32_e32 v3, s37
	s_and_b32 s16, s33, 0xff
	s_cmp_lt_i32 s16, 11
	v_ashrrev_i32_e32 v5, 31, v4
	v_add_co_u32_e32 v2, vcc, s36, v4
	v_addc_co_u32_e32 v3, vcc, v3, v5, vcc
	s_cbranch_scc1 .LBB9_592
; %bb.514:
	s_and_b32 s14, 0xffff, s16
	s_mov_b64 s[6:7], -1
	s_mov_b64 s[8:9], 0
	s_cmp_gt_i32 s14, 25
	s_mov_b64 s[10:11], 0
	s_mov_b64 s[4:5], 0
	s_cbranch_scc0 .LBB9_547
; %bb.515:
	s_cmp_gt_i32 s14, 28
	s_cbranch_scc0 .LBB9_530
; %bb.516:
	s_cmp_gt_i32 s14, 43
	;; [unrolled: 3-line block ×3, first 2 shown]
	s_cbranch_scc0 .LBB9_520
; %bb.518:
	s_mov_b64 s[4:5], -1
	s_mov_b64 s[6:7], 0
	s_cmp_eq_u32 s14, 46
	s_cbranch_scc0 .LBB9_520
; %bb.519:
	s_waitcnt vmcnt(2)
	v_cvt_f32_f64_e32 v5, v[10:11]
	s_movk_i32 s4, 0x7fff
	v_mov_b32_e32 v6, 0x7fc0
	s_mov_b64 s[10:11], -1
	v_bfe_u32 v7, v5, 16, 1
	v_cmp_o_f32_e32 vcc, v5, v5
	v_add3_u32 v5, v5, v7, s4
	v_cndmask_b32_sdwa v5, v6, v5, vcc dst_sel:DWORD dst_unused:UNUSED_PAD src0_sel:DWORD src1_sel:WORD_1
	global_store_dword v[2:3], v5, off
	s_mov_b64 s[4:5], 0
.LBB9_520:
	s_and_b64 vcc, exec, s[6:7]
	s_cbranch_vccz .LBB9_525
; %bb.521:
	s_cmp_eq_u32 s14, 44
	s_mov_b64 s[4:5], -1
	s_cbranch_scc0 .LBB9_525
; %bb.522:
	s_waitcnt vmcnt(2)
	v_cvt_f32_f64_e32 v5, v[10:11]
	s_movk_i32 s4, 0xff
	v_mov_b32_e32 v7, 0xff
	v_bfe_u32 v6, v5, 23, 8
	v_cmp_ne_u32_e32 vcc, s4, v6
	s_and_saveexec_b64 s[6:7], vcc
; %bb.523:
	s_mov_b32 s4, 0x3fffff
	v_lshrrev_b32_e32 v7, 23, v5
	v_and_b32_e32 v8, 0x400000, v5
	v_and_or_b32 v5, v5, s4, v6
	v_cmp_ne_u32_e32 vcc, 0, v8
	v_cmp_ne_u32_e64 s[4:5], 0, v5
	s_and_b64 s[4:5], vcc, s[4:5]
	v_cndmask_b32_e64 v5, 0, 1, s[4:5]
	v_add_u32_e32 v7, v7, v5
; %bb.524:
	s_or_b64 exec, exec, s[6:7]
	s_mov_b64 s[4:5], 0
	s_mov_b64 s[10:11], -1
	global_store_byte v[2:3], v7, off
.LBB9_525:
	s_mov_b64 s[6:7], 0
.LBB9_526:
	s_and_b64 vcc, exec, s[6:7]
	s_cbranch_vccz .LBB9_529
; %bb.527:
	s_cmp_eq_u32 s14, 29
	s_mov_b64 s[4:5], -1
	s_cbranch_scc0 .LBB9_529
; %bb.528:
	s_waitcnt vmcnt(2)
	v_trunc_f64_e32 v[5:6], v[10:11]
	s_movk_i32 s4, 0xffe0
	s_mov_b64 s[10:11], -1
	v_ldexp_f64 v[7:8], v[5:6], s4
	s_mov_b32 s4, 0
	s_mov_b32 s5, 0xc1f00000
	v_floor_f64_e32 v[7:8], v[7:8]
	v_fma_f64 v[5:6], v[7:8], s[4:5], v[5:6]
	v_cvt_u32_f64_e32 v7, v[7:8]
	s_mov_b64 s[4:5], 0
	v_cvt_u32_f64_e32 v6, v[5:6]
	global_store_dwordx2 v[2:3], v[6:7], off
.LBB9_529:
	s_mov_b64 s[6:7], 0
.LBB9_530:
	s_and_b64 vcc, exec, s[6:7]
	s_cbranch_vccz .LBB9_546
; %bb.531:
	s_cmp_lt_i32 s14, 27
	s_mov_b64 s[6:7], -1
	s_cbranch_scc1 .LBB9_537
; %bb.532:
	s_waitcnt vmcnt(2)
	v_cvt_u32_f64_e32 v5, v[10:11]
	s_cmp_gt_i32 s14, 27
	s_cbranch_scc0 .LBB9_534
; %bb.533:
	s_mov_b64 s[6:7], 0
	global_store_dword v[2:3], v5, off
.LBB9_534:
	s_andn2_b64 vcc, exec, s[6:7]
	s_cbranch_vccnz .LBB9_536
; %bb.535:
	global_store_short v[2:3], v5, off
.LBB9_536:
	s_mov_b64 s[6:7], 0
.LBB9_537:
	s_andn2_b64 vcc, exec, s[6:7]
	s_cbranch_vccnz .LBB9_545
; %bb.538:
	s_waitcnt vmcnt(2)
	v_cvt_f32_f64_e32 v5, v[10:11]
	s_mov_b32 s6, 0x43800000
	v_mov_b32_e32 v7, 0x80
	v_and_b32_e32 v6, 0x7fffffff, v5
	v_cmp_gt_u32_e32 vcc, s6, v6
	s_and_saveexec_b64 s[6:7], vcc
	s_cbranch_execz .LBB9_544
; %bb.539:
	s_mov_b32 s10, 0x3bffffff
	v_cmp_lt_u32_e32 vcc, s10, v6
	s_mov_b64 s[10:11], 0
                                        ; implicit-def: $vgpr6
	s_and_saveexec_b64 s[12:13], vcc
	s_xor_b64 s[12:13], exec, s[12:13]
	s_cbranch_execz .LBB9_989
; %bb.540:
	v_bfe_u32 v6, v5, 20, 1
	s_mov_b32 s15, 0x487ffff
	v_add3_u32 v6, v5, v6, s15
	s_mov_b64 s[10:11], exec
	v_lshrrev_b32_e32 v6, 20, v6
	s_andn2_saveexec_b64 s[12:13], s[12:13]
	s_cbranch_execnz .LBB9_990
.LBB9_541:
	s_or_b64 exec, exec, s[12:13]
	v_mov_b32_e32 v7, 0
	s_and_saveexec_b64 s[12:13], s[10:11]
.LBB9_542:
	v_lshrrev_b32_e32 v5, 24, v5
	s_movk_i32 s10, 0x80
	v_and_or_b32 v7, v5, s10, v6
.LBB9_543:
	s_or_b64 exec, exec, s[12:13]
.LBB9_544:
	s_or_b64 exec, exec, s[6:7]
	global_store_byte v[2:3], v7, off
.LBB9_545:
	s_mov_b64 s[10:11], -1
.LBB9_546:
	s_mov_b64 s[6:7], 0
.LBB9_547:
	s_and_b64 vcc, exec, s[6:7]
	s_cbranch_vccz .LBB9_587
; %bb.548:
	s_cmp_gt_i32 s14, 22
	s_mov_b64 s[6:7], -1
	s_cbranch_scc0 .LBB9_580
; %bb.549:
	s_cmp_lt_i32 s14, 24
	s_cbranch_scc1 .LBB9_569
; %bb.550:
	s_cmp_gt_i32 s14, 24
	s_cbranch_scc0 .LBB9_558
; %bb.551:
	s_waitcnt vmcnt(2)
	v_cvt_f32_f64_e32 v5, v[10:11]
	s_mov_b32 s6, 0x47800000
	v_mov_b32_e32 v7, 0x80
	v_and_b32_e32 v6, 0x7fffffff, v5
	v_cmp_gt_u32_e32 vcc, s6, v6
	s_and_saveexec_b64 s[6:7], vcc
	s_cbranch_execz .LBB9_557
; %bb.552:
	s_mov_b32 s8, 0x37ffffff
	v_cmp_lt_u32_e32 vcc, s8, v6
	s_mov_b64 s[8:9], 0
                                        ; implicit-def: $vgpr6
	s_and_saveexec_b64 s[10:11], vcc
	s_xor_b64 s[10:11], exec, s[10:11]
	s_cbranch_execz .LBB9_992
; %bb.553:
	v_bfe_u32 v6, v5, 21, 1
	s_mov_b32 s12, 0x88fffff
	v_add3_u32 v6, v5, v6, s12
	s_mov_b64 s[8:9], exec
	v_lshrrev_b32_e32 v6, 21, v6
	s_andn2_saveexec_b64 s[10:11], s[10:11]
	s_cbranch_execnz .LBB9_993
.LBB9_554:
	s_or_b64 exec, exec, s[10:11]
	v_mov_b32_e32 v7, 0
	s_and_saveexec_b64 s[10:11], s[8:9]
.LBB9_555:
	v_lshrrev_b32_e32 v5, 24, v5
	s_movk_i32 s8, 0x80
	v_and_or_b32 v7, v5, s8, v6
.LBB9_556:
	s_or_b64 exec, exec, s[10:11]
.LBB9_557:
	s_or_b64 exec, exec, s[6:7]
	s_mov_b64 s[6:7], 0
	global_store_byte v[2:3], v7, off
.LBB9_558:
	s_and_b64 vcc, exec, s[6:7]
	s_cbranch_vccz .LBB9_568
; %bb.559:
	s_waitcnt vmcnt(2)
	v_cvt_f32_f64_e32 v5, v[10:11]
	s_mov_b32 s6, 0x43f00000
                                        ; implicit-def: $vgpr6
	v_and_b32_e32 v7, 0x7fffffff, v5
	v_cmp_gt_u32_e32 vcc, s6, v7
	s_and_saveexec_b64 s[6:7], vcc
	s_xor_b64 s[6:7], exec, s[6:7]
	s_cbranch_execz .LBB9_565
; %bb.560:
	s_mov_b32 s8, 0x3c7fffff
	v_cmp_lt_u32_e32 vcc, s8, v7
                                        ; implicit-def: $vgpr6
	s_and_saveexec_b64 s[8:9], vcc
	s_xor_b64 s[8:9], exec, s[8:9]
; %bb.561:
	v_bfe_u32 v6, v5, 20, 1
	s_mov_b32 s10, 0x407ffff
	v_add3_u32 v6, v5, v6, s10
	v_lshrrev_b32_e32 v7, 20, v6
	v_and_b32_e32 v6, 0xff00000, v6
	s_mov_b32 s10, 0x7f00000
	v_mov_b32_e32 v8, 0x7e
	v_cmp_ne_u32_e32 vcc, s10, v6
	v_cndmask_b32_e32 v6, v8, v7, vcc
; %bb.562:
	s_andn2_saveexec_b64 s[8:9], s[8:9]
; %bb.563:
	s_mov_b32 s10, 0x46800000
	v_add_f32_e64 v6, |v5|, s10
; %bb.564:
	s_or_b64 exec, exec, s[8:9]
                                        ; implicit-def: $vgpr7
.LBB9_565:
	s_andn2_saveexec_b64 s[6:7], s[6:7]
; %bb.566:
	s_mov_b32 s8, 0x7f800000
	v_mov_b32_e32 v6, 0x7e
	v_mov_b32_e32 v8, 0x7f
	v_cmp_lt_u32_e32 vcc, s8, v7
	v_cndmask_b32_e32 v6, v6, v8, vcc
; %bb.567:
	s_or_b64 exec, exec, s[6:7]
	v_lshrrev_b32_e32 v5, 24, v5
	s_movk_i32 s6, 0x80
	v_and_or_b32 v5, v5, s6, v6
	global_store_byte v[2:3], v5, off
.LBB9_568:
	s_mov_b64 s[6:7], 0
.LBB9_569:
	s_andn2_b64 vcc, exec, s[6:7]
	s_cbranch_vccnz .LBB9_579
; %bb.570:
	s_waitcnt vmcnt(2)
	v_cvt_f32_f64_e32 v5, v[10:11]
	s_mov_b32 s6, 0x47800000
                                        ; implicit-def: $vgpr6
	v_and_b32_e32 v7, 0x7fffffff, v5
	v_cmp_gt_u32_e32 vcc, s6, v7
	s_and_saveexec_b64 s[6:7], vcc
	s_xor_b64 s[6:7], exec, s[6:7]
	s_cbranch_execz .LBB9_576
; %bb.571:
	s_mov_b32 s8, 0x387fffff
	v_cmp_lt_u32_e32 vcc, s8, v7
                                        ; implicit-def: $vgpr6
	s_and_saveexec_b64 s[8:9], vcc
	s_xor_b64 s[8:9], exec, s[8:9]
; %bb.572:
	v_bfe_u32 v6, v5, 21, 1
	s_mov_b32 s10, 0x80fffff
	v_add3_u32 v6, v5, v6, s10
	v_lshrrev_b32_e32 v6, 21, v6
; %bb.573:
	s_andn2_saveexec_b64 s[8:9], s[8:9]
; %bb.574:
	s_mov_b32 s10, 0x43000000
	v_add_f32_e64 v6, |v5|, s10
; %bb.575:
	s_or_b64 exec, exec, s[8:9]
                                        ; implicit-def: $vgpr7
.LBB9_576:
	s_andn2_saveexec_b64 s[6:7], s[6:7]
; %bb.577:
	s_mov_b32 s8, 0x7f800000
	v_mov_b32_e32 v6, 0x7c
	v_mov_b32_e32 v8, 0x7f
	v_cmp_lt_u32_e32 vcc, s8, v7
	v_cndmask_b32_e32 v6, v6, v8, vcc
; %bb.578:
	s_or_b64 exec, exec, s[6:7]
	v_lshrrev_b32_e32 v5, 24, v5
	s_movk_i32 s6, 0x80
	v_and_or_b32 v5, v5, s6, v6
	global_store_byte v[2:3], v5, off
.LBB9_579:
	s_mov_b64 s[6:7], 0
	s_mov_b64 s[10:11], -1
.LBB9_580:
	s_andn2_b64 vcc, exec, s[6:7]
	s_mov_b64 s[8:9], 0
	s_cbranch_vccnz .LBB9_587
; %bb.581:
	s_cmp_gt_i32 s14, 14
	s_mov_b64 s[6:7], -1
	s_cbranch_scc0 .LBB9_585
; %bb.582:
	s_cmp_eq_u32 s14, 15
	s_mov_b64 s[4:5], -1
	s_cbranch_scc0 .LBB9_584
; %bb.583:
	s_waitcnt vmcnt(2)
	v_cvt_f32_f64_e32 v5, v[10:11]
	s_movk_i32 s4, 0x7fff
	v_mov_b32_e32 v6, 0x7fc0
	s_mov_b64 s[10:11], -1
	v_bfe_u32 v7, v5, 16, 1
	v_cmp_o_f32_e32 vcc, v5, v5
	v_add3_u32 v5, v5, v7, s4
	v_cndmask_b32_sdwa v5, v6, v5, vcc dst_sel:DWORD dst_unused:UNUSED_PAD src0_sel:DWORD src1_sel:WORD_1
	global_store_short v[2:3], v5, off
	s_mov_b64 s[4:5], 0
.LBB9_584:
	s_mov_b64 s[6:7], 0
.LBB9_585:
	s_and_b64 vcc, exec, s[6:7]
	s_cbranch_vccz .LBB9_587
; %bb.586:
	s_cmp_lg_u32 s14, 11
	s_mov_b64 s[8:9], -1
	s_cselect_b64 s[4:5], -1, 0
.LBB9_587:
	s_and_b64 vcc, exec, s[4:5]
	s_mov_b64 s[6:7], s[52:53]
	s_cbranch_vccnz .LBB9_991
; %bb.588:
	s_andn2_b64 vcc, exec, s[8:9]
	s_cbranch_vccnz .LBB9_590
.LBB9_589:
	s_waitcnt vmcnt(2)
	v_cmp_neq_f64_e32 vcc, 0, v[10:11]
	s_mov_b64 s[10:11], -1
	v_cndmask_b32_e64 v5, 0, 1, vcc
	global_store_byte v[2:3], v5, off
.LBB9_590:
.LBB9_591:
	s_andn2_b64 vcc, exec, s[10:11]
	s_cbranch_vccz .LBB9_631
	s_branch .LBB9_943
.LBB9_592:
	s_mov_b64 s[10:11], 0
	s_mov_b64 s[6:7], s[52:53]
	s_cbranch_execz .LBB9_591
; %bb.593:
	s_and_b32 s8, 0xffff, s16
	s_cmp_lt_i32 s8, 5
	s_mov_b64 s[4:5], -1
	s_cbranch_scc1 .LBB9_614
; %bb.594:
	s_cmp_lt_i32 s8, 8
	s_cbranch_scc1 .LBB9_604
; %bb.595:
	s_cmp_lt_i32 s8, 9
	s_cbranch_scc1 .LBB9_601
; %bb.596:
	s_cmp_gt_i32 s8, 9
	s_cbranch_scc0 .LBB9_598
; %bb.597:
	s_waitcnt vmcnt(1)
	v_mov_b32_e32 v12, 0
	s_waitcnt vmcnt(0)
	v_mov_b32_e32 v13, v12
	global_store_dwordx4 v[2:3], v[10:13], off
	s_mov_b64 s[4:5], 0
.LBB9_598:
	s_andn2_b64 vcc, exec, s[4:5]
	s_cbranch_vccnz .LBB9_600
; %bb.599:
	s_waitcnt vmcnt(2)
	v_cvt_f32_f64_e32 v5, v[10:11]
	v_mov_b32_e32 v6, 0
	global_store_dwordx2 v[2:3], v[5:6], off
.LBB9_600:
	s_mov_b64 s[4:5], 0
.LBB9_601:
	s_andn2_b64 vcc, exec, s[4:5]
	s_cbranch_vccnz .LBB9_603
; %bb.602:
	s_movk_i32 s4, 0x1ff
	s_waitcnt vmcnt(2)
	v_and_or_b32 v5, v11, s4, v10
	v_cmp_ne_u32_e32 vcc, 0, v5
	v_cndmask_b32_e64 v5, 0, 1, vcc
	v_lshrrev_b32_e32 v6, 8, v11
	s_movk_i32 s4, 0xffe
	v_bfe_u32 v7, v11, 20, 11
	v_and_or_b32 v5, v6, s4, v5
	v_sub_u32_e32 v8, 0x3f1, v7
	v_or_b32_e32 v6, 0x1000, v5
	v_med3_i32 v8, v8, 0, 13
	v_lshrrev_b32_e32 v9, v8, v6
	v_lshlrev_b32_e32 v8, v8, v9
	v_cmp_ne_u32_e32 vcc, v8, v6
	v_cndmask_b32_e64 v6, 0, 1, vcc
	v_add_u32_e32 v7, 0xfffffc10, v7
	v_or_b32_e32 v6, v9, v6
	v_lshl_or_b32 v8, v7, 12, v5
	v_cmp_gt_i32_e32 vcc, 1, v7
	v_cndmask_b32_e32 v6, v8, v6, vcc
	v_and_b32_e32 v8, 7, v6
	v_cmp_lt_i32_e32 vcc, 5, v8
	v_cndmask_b32_e64 v9, 0, 1, vcc
	v_cmp_eq_u32_e32 vcc, 3, v8
	v_cndmask_b32_e64 v8, 0, 1, vcc
	v_or_b32_e32 v8, v8, v9
	v_lshrrev_b32_e32 v6, 2, v6
	v_add_u32_e32 v6, v6, v8
	v_mov_b32_e32 v8, 0x7c00
	v_cmp_gt_i32_e32 vcc, 31, v7
	v_cndmask_b32_e32 v6, v8, v6, vcc
	v_mov_b32_e32 v9, 0x7e00
	v_cmp_ne_u32_e32 vcc, 0, v5
	s_movk_i32 s4, 0x40f
	v_cndmask_b32_e32 v5, v8, v9, vcc
	v_cmp_eq_u32_e32 vcc, s4, v7
	v_cndmask_b32_e32 v5, v6, v5, vcc
	v_lshrrev_b32_e32 v6, 16, v11
	s_mov_b32 s4, 0x8000
	v_and_or_b32 v5, v6, s4, v5
	v_and_b32_e32 v5, 0xffff, v5
	global_store_dword v[2:3], v5, off
.LBB9_603:
	s_mov_b64 s[4:5], 0
.LBB9_604:
	s_andn2_b64 vcc, exec, s[4:5]
	s_cbranch_vccnz .LBB9_613
; %bb.605:
	s_cmp_lt_i32 s8, 6
	s_mov_b64 s[4:5], -1
	s_cbranch_scc1 .LBB9_611
; %bb.606:
	s_cmp_gt_i32 s8, 6
	s_cbranch_scc0 .LBB9_608
; %bb.607:
	s_waitcnt vmcnt(2)
	global_store_dwordx2 v[2:3], v[10:11], off
	s_mov_b64 s[4:5], 0
.LBB9_608:
	s_andn2_b64 vcc, exec, s[4:5]
	s_cbranch_vccnz .LBB9_610
; %bb.609:
	s_waitcnt vmcnt(2)
	v_cvt_f32_f64_e32 v5, v[10:11]
	global_store_dword v[2:3], v5, off
.LBB9_610:
	s_mov_b64 s[4:5], 0
.LBB9_611:
	s_andn2_b64 vcc, exec, s[4:5]
	s_cbranch_vccnz .LBB9_613
; %bb.612:
	s_movk_i32 s4, 0x1ff
	s_waitcnt vmcnt(2)
	v_and_or_b32 v5, v11, s4, v10
	v_cmp_ne_u32_e32 vcc, 0, v5
	v_cndmask_b32_e64 v5, 0, 1, vcc
	v_lshrrev_b32_e32 v6, 8, v11
	s_movk_i32 s4, 0xffe
	v_bfe_u32 v7, v11, 20, 11
	v_and_or_b32 v5, v6, s4, v5
	v_sub_u32_e32 v8, 0x3f1, v7
	v_or_b32_e32 v6, 0x1000, v5
	v_med3_i32 v8, v8, 0, 13
	v_lshrrev_b32_e32 v9, v8, v6
	v_lshlrev_b32_e32 v8, v8, v9
	v_cmp_ne_u32_e32 vcc, v8, v6
	v_cndmask_b32_e64 v6, 0, 1, vcc
	v_add_u32_e32 v7, 0xfffffc10, v7
	v_or_b32_e32 v6, v9, v6
	v_lshl_or_b32 v8, v7, 12, v5
	v_cmp_gt_i32_e32 vcc, 1, v7
	v_cndmask_b32_e32 v6, v8, v6, vcc
	v_and_b32_e32 v8, 7, v6
	v_cmp_lt_i32_e32 vcc, 5, v8
	v_cndmask_b32_e64 v9, 0, 1, vcc
	v_cmp_eq_u32_e32 vcc, 3, v8
	v_cndmask_b32_e64 v8, 0, 1, vcc
	v_or_b32_e32 v8, v8, v9
	v_lshrrev_b32_e32 v6, 2, v6
	v_add_u32_e32 v6, v6, v8
	v_mov_b32_e32 v8, 0x7c00
	v_cmp_gt_i32_e32 vcc, 31, v7
	v_cndmask_b32_e32 v6, v8, v6, vcc
	v_mov_b32_e32 v9, 0x7e00
	v_cmp_ne_u32_e32 vcc, 0, v5
	s_movk_i32 s4, 0x40f
	v_cndmask_b32_e32 v5, v8, v9, vcc
	v_cmp_eq_u32_e32 vcc, s4, v7
	v_cndmask_b32_e32 v5, v6, v5, vcc
	v_lshrrev_b32_e32 v6, 16, v11
	s_mov_b32 s4, 0x8000
	v_and_or_b32 v5, v6, s4, v5
	global_store_short v[2:3], v5, off
.LBB9_613:
	s_mov_b64 s[4:5], 0
.LBB9_614:
	s_andn2_b64 vcc, exec, s[4:5]
	s_cbranch_vccnz .LBB9_630
; %bb.615:
	s_cmp_lt_i32 s8, 2
	s_mov_b64 s[4:5], -1
	s_cbranch_scc1 .LBB9_625
; %bb.616:
	s_cmp_lt_i32 s8, 3
	s_cbranch_scc1 .LBB9_622
; %bb.617:
	s_cmp_gt_i32 s8, 3
	s_cbranch_scc0 .LBB9_619
; %bb.618:
	s_waitcnt vmcnt(2)
	v_trunc_f64_e32 v[5:6], v[10:11]
	s_movk_i32 s4, 0xffe0
	v_ldexp_f64 v[7:8], v[5:6], s4
	s_mov_b32 s4, 0
	s_mov_b32 s5, 0xc1f00000
	v_floor_f64_e32 v[7:8], v[7:8]
	v_fma_f64 v[5:6], v[7:8], s[4:5], v[5:6]
	v_cvt_i32_f64_e32 v7, v[7:8]
	s_mov_b64 s[4:5], 0
	v_cvt_u32_f64_e32 v6, v[5:6]
	global_store_dwordx2 v[2:3], v[6:7], off
.LBB9_619:
	s_andn2_b64 vcc, exec, s[4:5]
	s_cbranch_vccnz .LBB9_621
; %bb.620:
	s_waitcnt vmcnt(2)
	v_cvt_i32_f64_e32 v5, v[10:11]
	global_store_dword v[2:3], v5, off
.LBB9_621:
	s_mov_b64 s[4:5], 0
.LBB9_622:
	s_andn2_b64 vcc, exec, s[4:5]
	s_cbranch_vccnz .LBB9_624
; %bb.623:
	s_waitcnt vmcnt(2)
	v_cvt_i32_f64_e32 v5, v[10:11]
	global_store_short v[2:3], v5, off
.LBB9_624:
	s_mov_b64 s[4:5], 0
.LBB9_625:
	s_andn2_b64 vcc, exec, s[4:5]
	s_cbranch_vccnz .LBB9_630
; %bb.626:
	s_cmp_gt_i32 s8, 0
	s_mov_b64 s[4:5], -1
	s_cbranch_scc0 .LBB9_628
; %bb.627:
	s_waitcnt vmcnt(2)
	v_cvt_i32_f64_e32 v5, v[10:11]
	s_mov_b64 s[4:5], 0
	global_store_byte v[2:3], v5, off
.LBB9_628:
	s_andn2_b64 vcc, exec, s[4:5]
	s_cbranch_vccnz .LBB9_630
; %bb.629:
	s_waitcnt vmcnt(2)
	v_trunc_f64_e32 v[5:6], v[10:11]
	s_movk_i32 s4, 0xffe0
	v_ldexp_f64 v[7:8], v[5:6], s4
	s_mov_b32 s4, 0
	s_mov_b32 s5, 0xc1f00000
	v_floor_f64_e32 v[7:8], v[7:8]
	v_fma_f64 v[5:6], v[7:8], s[4:5], v[5:6]
	v_cvt_u32_f64_e32 v5, v[5:6]
	global_store_byte v[2:3], v5, off
.LBB9_630:
.LBB9_631:
	s_lshl_b32 s17, s34, 7
	v_add_u32_e32 v4, s17, v4
	v_ashrrev_i32_e32 v3, 31, v4
	v_mov_b32_e32 v5, s37
	v_add_co_u32_e32 v2, vcc, s36, v4
	s_cmp_lt_i32 s16, 11
	v_addc_co_u32_e32 v3, vcc, v5, v3, vcc
	s_cbranch_scc1 .LBB9_710
; %bb.632:
	s_and_b32 s18, 0xffff, s16
	s_mov_b64 s[12:13], -1
	s_mov_b64 s[8:9], 0
	s_cmp_gt_i32 s18, 25
	s_mov_b64 s[10:11], 0
	s_mov_b64 s[4:5], 0
	s_cbranch_scc0 .LBB9_665
; %bb.633:
	s_cmp_gt_i32 s18, 28
	s_cbranch_scc0 .LBB9_648
; %bb.634:
	s_cmp_gt_i32 s18, 43
	;; [unrolled: 3-line block ×3, first 2 shown]
	s_cbranch_scc0 .LBB9_638
; %bb.636:
	s_mov_b64 s[4:5], -1
	s_mov_b64 s[12:13], 0
	s_cmp_eq_u32 s18, 46
	s_cbranch_scc0 .LBB9_638
; %bb.637:
	buffer_load_dword v5, off, s[0:3], 0 offset:16 ; 4-byte Folded Reload
	buffer_load_dword v6, off, s[0:3], 0 offset:20 ; 4-byte Folded Reload
	;; [unrolled: 1-line block ×4, first 2 shown]
	s_movk_i32 s4, 0x7fff
	s_mov_b64 s[10:11], -1
	s_waitcnt vmcnt(2)
	v_cvt_f32_f64_e32 v5, v[5:6]
	v_mov_b32_e32 v6, 0x7fc0
	s_waitcnt vmcnt(1)
	v_bfe_u32 v7, v5, 16, 1
	v_cmp_o_f32_e32 vcc, v5, v5
	v_add3_u32 v5, v5, v7, s4
	v_cndmask_b32_sdwa v5, v6, v5, vcc dst_sel:DWORD dst_unused:UNUSED_PAD src0_sel:DWORD src1_sel:WORD_1
	global_store_dword v[2:3], v5, off
	s_mov_b64 s[4:5], 0
.LBB9_638:
	s_and_b64 vcc, exec, s[12:13]
	s_cbranch_vccz .LBB9_643
; %bb.639:
	s_cmp_eq_u32 s18, 44
	s_mov_b64 s[4:5], -1
	s_cbranch_scc0 .LBB9_643
; %bb.640:
	buffer_load_dword v5, off, s[0:3], 0 offset:16 ; 4-byte Folded Reload
	buffer_load_dword v6, off, s[0:3], 0 offset:20 ; 4-byte Folded Reload
	;; [unrolled: 1-line block ×4, first 2 shown]
	s_movk_i32 s4, 0xff
	s_waitcnt vmcnt(1)
	v_mov_b32_e32 v7, 0xff
	v_cvt_f32_f64_e32 v5, v[5:6]
	v_bfe_u32 v6, v5, 23, 8
	v_cmp_ne_u32_e32 vcc, s4, v6
	s_and_saveexec_b64 s[10:11], vcc
	s_cbranch_execz .LBB9_642
; %bb.641:
	s_mov_b32 s4, 0x3fffff
	v_lshrrev_b32_e32 v7, 23, v5
	s_waitcnt vmcnt(0)
	v_and_b32_e32 v8, 0x400000, v5
	v_and_or_b32 v5, v5, s4, v6
	v_cmp_ne_u32_e32 vcc, 0, v8
	v_cmp_ne_u32_e64 s[4:5], 0, v5
	s_and_b64 s[4:5], vcc, s[4:5]
	v_cndmask_b32_e64 v5, 0, 1, s[4:5]
	v_add_u32_e32 v7, v7, v5
.LBB9_642:
	s_or_b64 exec, exec, s[10:11]
	s_mov_b64 s[4:5], 0
	s_mov_b64 s[10:11], -1
	global_store_byte v[2:3], v7, off
.LBB9_643:
	s_mov_b64 s[12:13], 0
.LBB9_644:
	s_and_b64 vcc, exec, s[12:13]
	s_cbranch_vccz .LBB9_647
; %bb.645:
	s_cmp_eq_u32 s18, 29
	s_mov_b64 s[4:5], -1
	s_cbranch_scc0 .LBB9_647
; %bb.646:
	buffer_load_dword v5, off, s[0:3], 0 offset:16 ; 4-byte Folded Reload
	buffer_load_dword v6, off, s[0:3], 0 offset:20 ; 4-byte Folded Reload
	;; [unrolled: 1-line block ×4, first 2 shown]
	s_movk_i32 s4, 0xffe0
	s_mov_b64 s[10:11], -1
	s_waitcnt vmcnt(2)
	v_trunc_f64_e32 v[5:6], v[5:6]
	s_waitcnt vmcnt(0)
	v_ldexp_f64 v[7:8], v[5:6], s4
	s_mov_b32 s4, 0
	s_mov_b32 s5, 0xc1f00000
	v_floor_f64_e32 v[7:8], v[7:8]
	v_fma_f64 v[5:6], v[7:8], s[4:5], v[5:6]
	v_cvt_u32_f64_e32 v7, v[7:8]
	s_mov_b64 s[4:5], 0
	v_cvt_u32_f64_e32 v6, v[5:6]
	global_store_dwordx2 v[2:3], v[6:7], off
.LBB9_647:
	s_mov_b64 s[12:13], 0
.LBB9_648:
	s_and_b64 vcc, exec, s[12:13]
	s_cbranch_vccz .LBB9_664
; %bb.649:
	s_cmp_lt_i32 s18, 27
	s_mov_b64 s[10:11], -1
	s_cbranch_scc1 .LBB9_655
; %bb.650:
	buffer_load_dword v5, off, s[0:3], 0 offset:16 ; 4-byte Folded Reload
	buffer_load_dword v6, off, s[0:3], 0 offset:20 ; 4-byte Folded Reload
	;; [unrolled: 1-line block ×4, first 2 shown]
	s_cmp_gt_i32 s18, 27
	s_waitcnt vmcnt(2)
	v_cvt_u32_f64_e32 v5, v[5:6]
	s_cbranch_scc0 .LBB9_652
; %bb.651:
	s_mov_b64 s[10:11], 0
	global_store_dword v[2:3], v5, off
.LBB9_652:
	s_andn2_b64 vcc, exec, s[10:11]
	s_cbranch_vccnz .LBB9_654
; %bb.653:
	global_store_short v[2:3], v5, off
.LBB9_654:
	s_mov_b64 s[10:11], 0
.LBB9_655:
	s_andn2_b64 vcc, exec, s[10:11]
	s_cbranch_vccnz .LBB9_663
; %bb.656:
	buffer_load_dword v5, off, s[0:3], 0 offset:16 ; 4-byte Folded Reload
	buffer_load_dword v6, off, s[0:3], 0 offset:20 ; 4-byte Folded Reload
	;; [unrolled: 1-line block ×4, first 2 shown]
	s_mov_b32 s10, 0x43800000
	s_waitcnt vmcnt(1)
	v_mov_b32_e32 v7, 0x80
	v_cvt_f32_f64_e32 v5, v[5:6]
	v_and_b32_e32 v6, 0x7fffffff, v5
	v_cmp_gt_u32_e32 vcc, s10, v6
	s_and_saveexec_b64 s[10:11], vcc
	s_cbranch_execz .LBB9_662
; %bb.657:
	s_mov_b32 s12, 0x3bffffff
	v_cmp_lt_u32_e32 vcc, s12, v6
	s_mov_b64 s[12:13], 0
                                        ; implicit-def: $vgpr6
	s_and_saveexec_b64 s[14:15], vcc
	s_xor_b64 s[14:15], exec, s[14:15]
	s_cbranch_execz .LBB9_994
; %bb.658:
	v_bfe_u32 v6, v5, 20, 1
	s_mov_b32 s19, 0x487ffff
	v_add3_u32 v6, v5, v6, s19
	s_mov_b64 s[12:13], exec
	v_lshrrev_b32_e32 v6, 20, v6
	s_andn2_saveexec_b64 s[14:15], s[14:15]
	s_cbranch_execnz .LBB9_995
.LBB9_659:
	s_or_b64 exec, exec, s[14:15]
	v_mov_b32_e32 v7, 0
	s_and_saveexec_b64 s[14:15], s[12:13]
.LBB9_660:
	v_lshrrev_b32_e32 v5, 24, v5
	s_movk_i32 s12, 0x80
	v_and_or_b32 v7, v5, s12, v6
.LBB9_661:
	s_or_b64 exec, exec, s[14:15]
.LBB9_662:
	s_or_b64 exec, exec, s[10:11]
	global_store_byte v[2:3], v7, off
.LBB9_663:
	s_mov_b64 s[10:11], -1
.LBB9_664:
	s_mov_b64 s[12:13], 0
.LBB9_665:
	s_and_b64 vcc, exec, s[12:13]
	s_cbranch_vccz .LBB9_705
; %bb.666:
	s_cmp_gt_i32 s18, 22
	s_mov_b64 s[8:9], -1
	s_cbranch_scc0 .LBB9_698
; %bb.667:
	s_cmp_lt_i32 s18, 24
	s_cbranch_scc1 .LBB9_687
; %bb.668:
	s_cmp_gt_i32 s18, 24
	s_cbranch_scc0 .LBB9_676
; %bb.669:
	buffer_load_dword v5, off, s[0:3], 0 offset:16 ; 4-byte Folded Reload
	buffer_load_dword v6, off, s[0:3], 0 offset:20 ; 4-byte Folded Reload
	;; [unrolled: 1-line block ×4, first 2 shown]
	s_mov_b32 s8, 0x47800000
	s_waitcnt vmcnt(1)
	v_mov_b32_e32 v7, 0x80
	v_cvt_f32_f64_e32 v5, v[5:6]
	v_and_b32_e32 v6, 0x7fffffff, v5
	v_cmp_gt_u32_e32 vcc, s8, v6
	s_and_saveexec_b64 s[8:9], vcc
	s_cbranch_execz .LBB9_675
; %bb.670:
	s_mov_b32 s10, 0x37ffffff
	v_cmp_lt_u32_e32 vcc, s10, v6
	s_mov_b64 s[10:11], 0
                                        ; implicit-def: $vgpr6
	s_and_saveexec_b64 s[12:13], vcc
	s_xor_b64 s[12:13], exec, s[12:13]
	s_cbranch_execz .LBB9_997
; %bb.671:
	v_bfe_u32 v6, v5, 21, 1
	s_mov_b32 s14, 0x88fffff
	v_add3_u32 v6, v5, v6, s14
	s_mov_b64 s[10:11], exec
	v_lshrrev_b32_e32 v6, 21, v6
	s_andn2_saveexec_b64 s[12:13], s[12:13]
	s_cbranch_execnz .LBB9_998
.LBB9_672:
	s_or_b64 exec, exec, s[12:13]
	v_mov_b32_e32 v7, 0
	s_and_saveexec_b64 s[12:13], s[10:11]
.LBB9_673:
	v_lshrrev_b32_e32 v5, 24, v5
	s_movk_i32 s10, 0x80
	v_and_or_b32 v7, v5, s10, v6
.LBB9_674:
	s_or_b64 exec, exec, s[12:13]
.LBB9_675:
	s_or_b64 exec, exec, s[8:9]
	s_mov_b64 s[8:9], 0
	global_store_byte v[2:3], v7, off
.LBB9_676:
	s_and_b64 vcc, exec, s[8:9]
	s_cbranch_vccz .LBB9_686
; %bb.677:
	buffer_load_dword v5, off, s[0:3], 0 offset:16 ; 4-byte Folded Reload
	buffer_load_dword v6, off, s[0:3], 0 offset:20 ; 4-byte Folded Reload
	;; [unrolled: 1-line block ×4, first 2 shown]
	s_mov_b32 s8, 0x43f00000
	s_waitcnt vmcnt(2)
	v_cvt_f32_f64_e32 v5, v[5:6]
                                        ; implicit-def: $vgpr6
	s_waitcnt vmcnt(1)
	v_and_b32_e32 v7, 0x7fffffff, v5
	v_cmp_gt_u32_e32 vcc, s8, v7
	s_and_saveexec_b64 s[8:9], vcc
	s_xor_b64 s[8:9], exec, s[8:9]
	s_cbranch_execz .LBB9_683
; %bb.678:
	s_mov_b32 s10, 0x3c7fffff
	v_cmp_lt_u32_e32 vcc, s10, v7
                                        ; implicit-def: $vgpr6
	s_and_saveexec_b64 s[10:11], vcc
	s_xor_b64 s[10:11], exec, s[10:11]
	s_cbranch_execz .LBB9_680
; %bb.679:
	v_bfe_u32 v6, v5, 20, 1
	s_mov_b32 s12, 0x407ffff
	v_add3_u32 v6, v5, v6, s12
	v_lshrrev_b32_e32 v7, 20, v6
	v_and_b32_e32 v6, 0xff00000, v6
	s_mov_b32 s12, 0x7f00000
	s_waitcnt vmcnt(0)
	v_mov_b32_e32 v8, 0x7e
	v_cmp_ne_u32_e32 vcc, s12, v6
	v_cndmask_b32_e32 v6, v8, v7, vcc
.LBB9_680:
	s_andn2_saveexec_b64 s[10:11], s[10:11]
; %bb.681:
	s_mov_b32 s12, 0x46800000
	v_add_f32_e64 v6, |v5|, s12
; %bb.682:
	s_or_b64 exec, exec, s[10:11]
                                        ; implicit-def: $vgpr7
.LBB9_683:
	s_andn2_saveexec_b64 s[8:9], s[8:9]
	s_cbranch_execz .LBB9_685
; %bb.684:
	s_mov_b32 s10, 0x7f800000
	v_mov_b32_e32 v6, 0x7e
	s_waitcnt vmcnt(0)
	v_mov_b32_e32 v8, 0x7f
	v_cmp_lt_u32_e32 vcc, s10, v7
	v_cndmask_b32_e32 v6, v6, v8, vcc
.LBB9_685:
	s_or_b64 exec, exec, s[8:9]
	v_lshrrev_b32_e32 v5, 24, v5
	s_movk_i32 s8, 0x80
	v_and_or_b32 v5, v5, s8, v6
	global_store_byte v[2:3], v5, off
.LBB9_686:
	s_mov_b64 s[8:9], 0
.LBB9_687:
	s_andn2_b64 vcc, exec, s[8:9]
	s_cbranch_vccnz .LBB9_697
; %bb.688:
	buffer_load_dword v5, off, s[0:3], 0 offset:16 ; 4-byte Folded Reload
	buffer_load_dword v6, off, s[0:3], 0 offset:20 ; 4-byte Folded Reload
	;; [unrolled: 1-line block ×4, first 2 shown]
	s_mov_b32 s8, 0x47800000
	s_waitcnt vmcnt(2)
	v_cvt_f32_f64_e32 v5, v[5:6]
                                        ; implicit-def: $vgpr6
	s_waitcnt vmcnt(1)
	v_and_b32_e32 v7, 0x7fffffff, v5
	v_cmp_gt_u32_e32 vcc, s8, v7
	s_and_saveexec_b64 s[8:9], vcc
	s_xor_b64 s[8:9], exec, s[8:9]
	s_cbranch_execz .LBB9_694
; %bb.689:
	s_mov_b32 s10, 0x387fffff
	v_cmp_lt_u32_e32 vcc, s10, v7
                                        ; implicit-def: $vgpr6
	s_and_saveexec_b64 s[10:11], vcc
	s_xor_b64 s[10:11], exec, s[10:11]
; %bb.690:
	v_bfe_u32 v6, v5, 21, 1
	s_mov_b32 s12, 0x80fffff
	v_add3_u32 v6, v5, v6, s12
	v_lshrrev_b32_e32 v6, 21, v6
; %bb.691:
	s_andn2_saveexec_b64 s[10:11], s[10:11]
; %bb.692:
	s_mov_b32 s12, 0x43000000
	v_add_f32_e64 v6, |v5|, s12
; %bb.693:
	s_or_b64 exec, exec, s[10:11]
                                        ; implicit-def: $vgpr7
.LBB9_694:
	s_andn2_saveexec_b64 s[8:9], s[8:9]
	s_cbranch_execz .LBB9_696
; %bb.695:
	s_mov_b32 s10, 0x7f800000
	v_mov_b32_e32 v6, 0x7c
	s_waitcnt vmcnt(0)
	v_mov_b32_e32 v8, 0x7f
	v_cmp_lt_u32_e32 vcc, s10, v7
	v_cndmask_b32_e32 v6, v6, v8, vcc
.LBB9_696:
	s_or_b64 exec, exec, s[8:9]
	v_lshrrev_b32_e32 v5, 24, v5
	s_movk_i32 s8, 0x80
	v_and_or_b32 v5, v5, s8, v6
	global_store_byte v[2:3], v5, off
.LBB9_697:
	s_mov_b64 s[8:9], 0
	s_mov_b64 s[10:11], -1
.LBB9_698:
	s_andn2_b64 vcc, exec, s[8:9]
	s_mov_b64 s[8:9], 0
	s_cbranch_vccnz .LBB9_705
; %bb.699:
	s_cmp_gt_i32 s18, 14
	s_mov_b64 s[12:13], -1
	s_cbranch_scc0 .LBB9_703
; %bb.700:
	s_cmp_eq_u32 s18, 15
	s_mov_b64 s[4:5], -1
	s_cbranch_scc0 .LBB9_702
; %bb.701:
	buffer_load_dword v5, off, s[0:3], 0 offset:16 ; 4-byte Folded Reload
	buffer_load_dword v6, off, s[0:3], 0 offset:20 ; 4-byte Folded Reload
	;; [unrolled: 1-line block ×4, first 2 shown]
	s_movk_i32 s4, 0x7fff
	s_mov_b64 s[10:11], -1
	s_waitcnt vmcnt(2)
	v_cvt_f32_f64_e32 v5, v[5:6]
	v_mov_b32_e32 v6, 0x7fc0
	s_waitcnt vmcnt(1)
	v_bfe_u32 v7, v5, 16, 1
	v_cmp_o_f32_e32 vcc, v5, v5
	v_add3_u32 v5, v5, v7, s4
	v_cndmask_b32_sdwa v5, v6, v5, vcc dst_sel:DWORD dst_unused:UNUSED_PAD src0_sel:DWORD src1_sel:WORD_1
	global_store_short v[2:3], v5, off
	s_mov_b64 s[4:5], 0
.LBB9_702:
	s_mov_b64 s[12:13], 0
.LBB9_703:
	s_and_b64 vcc, exec, s[12:13]
	s_cbranch_vccz .LBB9_705
; %bb.704:
	s_cmp_lg_u32 s18, 11
	s_mov_b64 s[8:9], -1
	s_cselect_b64 s[4:5], -1, 0
.LBB9_705:
	s_and_b64 vcc, exec, s[4:5]
	s_cbranch_vccnz .LBB9_996
; %bb.706:
	s_andn2_b64 vcc, exec, s[8:9]
	s_cbranch_vccnz .LBB9_708
.LBB9_707:
	buffer_load_dword v5, off, s[0:3], 0 offset:16 ; 4-byte Folded Reload
	buffer_load_dword v6, off, s[0:3], 0 offset:20 ; 4-byte Folded Reload
	;; [unrolled: 1-line block ×4, first 2 shown]
	s_mov_b64 s[10:11], -1
	s_waitcnt vmcnt(2)
	v_cmp_neq_f64_e32 vcc, 0, v[5:6]
	v_cndmask_b32_e64 v5, 0, 1, vcc
	global_store_byte v[2:3], v5, off
.LBB9_708:
.LBB9_709:
	s_andn2_b64 vcc, exec, s[10:11]
	s_cbranch_vccz .LBB9_749
	s_branch .LBB9_943
.LBB9_710:
	s_mov_b64 s[10:11], 0
	s_cbranch_execz .LBB9_709
; %bb.711:
	s_and_b32 s8, 0xffff, s16
	s_cmp_lt_i32 s8, 5
	s_mov_b64 s[4:5], -1
	s_cbranch_scc1 .LBB9_732
; %bb.712:
	s_cmp_lt_i32 s8, 8
	s_cbranch_scc1 .LBB9_722
; %bb.713:
	s_cmp_lt_i32 s8, 9
	s_cbranch_scc1 .LBB9_719
; %bb.714:
	s_cmp_gt_i32 s8, 9
	s_cbranch_scc0 .LBB9_716
; %bb.715:
	buffer_load_dword v5, off, s[0:3], 0 offset:16 ; 4-byte Folded Reload
	buffer_load_dword v6, off, s[0:3], 0 offset:20 ; 4-byte Folded Reload
	;; [unrolled: 1-line block ×4, first 2 shown]
	v_mov_b32_e32 v9, 0
	s_waitcnt vmcnt(7)
	v_mov_b32_e32 v10, v9
	s_mov_b64 s[4:5], 0
	s_waitcnt vmcnt(0)
	v_mov_b32_e32 v8, v6
	v_mov_b32_e32 v7, v5
	buffer_store_dword v5, off, s[0:3], 0 offset:16 ; 4-byte Folded Spill
	s_nop 0
	buffer_store_dword v6, off, s[0:3], 0 offset:20 ; 4-byte Folded Spill
	buffer_store_dword v7, off, s[0:3], 0 offset:24 ; 4-byte Folded Spill
	;; [unrolled: 1-line block ×3, first 2 shown]
	global_store_dwordx4 v[2:3], v[7:10], off
.LBB9_716:
	s_andn2_b64 vcc, exec, s[4:5]
	s_cbranch_vccnz .LBB9_718
; %bb.717:
	buffer_load_dword v5, off, s[0:3], 0 offset:16 ; 4-byte Folded Reload
	buffer_load_dword v6, off, s[0:3], 0 offset:20 ; 4-byte Folded Reload
	;; [unrolled: 1-line block ×4, first 2 shown]
	s_waitcnt vmcnt(2)
	v_cvt_f32_f64_e32 v5, v[5:6]
	v_mov_b32_e32 v6, 0
	global_store_dwordx2 v[2:3], v[5:6], off
.LBB9_718:
	s_mov_b64 s[4:5], 0
.LBB9_719:
	s_andn2_b64 vcc, exec, s[4:5]
	s_cbranch_vccnz .LBB9_721
; %bb.720:
	buffer_load_dword v5, off, s[0:3], 0 offset:16 ; 4-byte Folded Reload
	buffer_load_dword v6, off, s[0:3], 0 offset:20 ; 4-byte Folded Reload
	;; [unrolled: 1-line block ×4, first 2 shown]
	s_movk_i32 s4, 0x1ff
	s_waitcnt vmcnt(2)
	v_mov_b32_e32 v10, v6
	v_mov_b32_e32 v9, v5
	v_and_or_b32 v5, v10, s4, v9
	v_cmp_ne_u32_e32 vcc, 0, v5
	v_cndmask_b32_e64 v5, 0, 1, vcc
	v_lshrrev_b32_e32 v6, 8, v10
	s_movk_i32 s4, 0xffe
	s_waitcnt vmcnt(1)
	v_bfe_u32 v7, v10, 20, 11
	v_and_or_b32 v5, v6, s4, v5
	s_waitcnt vmcnt(0)
	v_sub_u32_e32 v8, 0x3f1, v7
	v_or_b32_e32 v6, 0x1000, v5
	v_med3_i32 v8, v8, 0, 13
	v_lshrrev_b32_e32 v9, v8, v6
	v_lshlrev_b32_e32 v8, v8, v9
	v_cmp_ne_u32_e32 vcc, v8, v6
	v_cndmask_b32_e64 v6, 0, 1, vcc
	v_add_u32_e32 v7, 0xfffffc10, v7
	v_or_b32_e32 v6, v9, v6
	v_lshl_or_b32 v8, v7, 12, v5
	v_cmp_gt_i32_e32 vcc, 1, v7
	v_cndmask_b32_e32 v6, v8, v6, vcc
	v_and_b32_e32 v8, 7, v6
	v_cmp_lt_i32_e32 vcc, 5, v8
	v_cndmask_b32_e64 v9, 0, 1, vcc
	v_cmp_eq_u32_e32 vcc, 3, v8
	v_cndmask_b32_e64 v8, 0, 1, vcc
	v_or_b32_e32 v8, v8, v9
	v_lshrrev_b32_e32 v6, 2, v6
	v_add_u32_e32 v6, v6, v8
	v_mov_b32_e32 v8, 0x7c00
	v_cmp_gt_i32_e32 vcc, 31, v7
	v_cndmask_b32_e32 v6, v8, v6, vcc
	v_mov_b32_e32 v9, 0x7e00
	v_cmp_ne_u32_e32 vcc, 0, v5
	s_movk_i32 s4, 0x40f
	v_cndmask_b32_e32 v5, v8, v9, vcc
	v_cmp_eq_u32_e32 vcc, s4, v7
	v_cndmask_b32_e32 v5, v6, v5, vcc
	v_lshrrev_b32_e32 v6, 16, v10
	s_mov_b32 s4, 0x8000
	v_and_or_b32 v5, v6, s4, v5
	v_and_b32_e32 v5, 0xffff, v5
	global_store_dword v[2:3], v5, off
.LBB9_721:
	s_mov_b64 s[4:5], 0
.LBB9_722:
	s_andn2_b64 vcc, exec, s[4:5]
	s_cbranch_vccnz .LBB9_731
; %bb.723:
	s_cmp_lt_i32 s8, 6
	s_mov_b64 s[4:5], -1
	s_cbranch_scc1 .LBB9_729
; %bb.724:
	s_cmp_gt_i32 s8, 6
	s_cbranch_scc0 .LBB9_726
; %bb.725:
	buffer_load_dword v5, off, s[0:3], 0 offset:16 ; 4-byte Folded Reload
	buffer_load_dword v6, off, s[0:3], 0 offset:20 ; 4-byte Folded Reload
	;; [unrolled: 1-line block ×4, first 2 shown]
	s_mov_b64 s[4:5], 0
	s_waitcnt vmcnt(2)
	global_store_dwordx2 v[2:3], v[5:6], off
.LBB9_726:
	s_andn2_b64 vcc, exec, s[4:5]
	s_cbranch_vccnz .LBB9_728
; %bb.727:
	buffer_load_dword v5, off, s[0:3], 0 offset:16 ; 4-byte Folded Reload
	buffer_load_dword v6, off, s[0:3], 0 offset:20 ; 4-byte Folded Reload
	;; [unrolled: 1-line block ×4, first 2 shown]
	s_waitcnt vmcnt(2)
	v_cvt_f32_f64_e32 v5, v[5:6]
	global_store_dword v[2:3], v5, off
.LBB9_728:
	s_mov_b64 s[4:5], 0
.LBB9_729:
	s_andn2_b64 vcc, exec, s[4:5]
	s_cbranch_vccnz .LBB9_731
; %bb.730:
	buffer_load_dword v5, off, s[0:3], 0 offset:16 ; 4-byte Folded Reload
	buffer_load_dword v6, off, s[0:3], 0 offset:20 ; 4-byte Folded Reload
	;; [unrolled: 1-line block ×4, first 2 shown]
	s_movk_i32 s4, 0x1ff
	s_waitcnt vmcnt(2)
	v_mov_b32_e32 v10, v6
	v_mov_b32_e32 v9, v5
	v_and_or_b32 v5, v10, s4, v9
	v_cmp_ne_u32_e32 vcc, 0, v5
	v_cndmask_b32_e64 v5, 0, 1, vcc
	v_lshrrev_b32_e32 v6, 8, v10
	s_movk_i32 s4, 0xffe
	s_waitcnt vmcnt(1)
	v_bfe_u32 v7, v10, 20, 11
	v_and_or_b32 v5, v6, s4, v5
	s_waitcnt vmcnt(0)
	v_sub_u32_e32 v8, 0x3f1, v7
	v_or_b32_e32 v6, 0x1000, v5
	v_med3_i32 v8, v8, 0, 13
	v_lshrrev_b32_e32 v9, v8, v6
	v_lshlrev_b32_e32 v8, v8, v9
	v_cmp_ne_u32_e32 vcc, v8, v6
	v_cndmask_b32_e64 v6, 0, 1, vcc
	v_add_u32_e32 v7, 0xfffffc10, v7
	v_or_b32_e32 v6, v9, v6
	v_lshl_or_b32 v8, v7, 12, v5
	v_cmp_gt_i32_e32 vcc, 1, v7
	v_cndmask_b32_e32 v6, v8, v6, vcc
	v_and_b32_e32 v8, 7, v6
	v_cmp_lt_i32_e32 vcc, 5, v8
	v_cndmask_b32_e64 v9, 0, 1, vcc
	v_cmp_eq_u32_e32 vcc, 3, v8
	v_cndmask_b32_e64 v8, 0, 1, vcc
	v_or_b32_e32 v8, v8, v9
	v_lshrrev_b32_e32 v6, 2, v6
	v_add_u32_e32 v6, v6, v8
	v_mov_b32_e32 v8, 0x7c00
	v_cmp_gt_i32_e32 vcc, 31, v7
	v_cndmask_b32_e32 v6, v8, v6, vcc
	v_mov_b32_e32 v9, 0x7e00
	v_cmp_ne_u32_e32 vcc, 0, v5
	s_movk_i32 s4, 0x40f
	v_cndmask_b32_e32 v5, v8, v9, vcc
	v_cmp_eq_u32_e32 vcc, s4, v7
	v_cndmask_b32_e32 v5, v6, v5, vcc
	v_lshrrev_b32_e32 v6, 16, v10
	s_mov_b32 s4, 0x8000
	v_and_or_b32 v5, v6, s4, v5
	global_store_short v[2:3], v5, off
.LBB9_731:
	s_mov_b64 s[4:5], 0
.LBB9_732:
	s_andn2_b64 vcc, exec, s[4:5]
	s_cbranch_vccnz .LBB9_748
; %bb.733:
	s_cmp_lt_i32 s8, 2
	s_mov_b64 s[4:5], -1
	s_cbranch_scc1 .LBB9_743
; %bb.734:
	s_cmp_lt_i32 s8, 3
	s_cbranch_scc1 .LBB9_740
; %bb.735:
	s_cmp_gt_i32 s8, 3
	s_cbranch_scc0 .LBB9_737
; %bb.736:
	buffer_load_dword v5, off, s[0:3], 0 offset:16 ; 4-byte Folded Reload
	buffer_load_dword v6, off, s[0:3], 0 offset:20 ; 4-byte Folded Reload
	;; [unrolled: 1-line block ×4, first 2 shown]
	s_movk_i32 s4, 0xffe0
	s_waitcnt vmcnt(2)
	v_trunc_f64_e32 v[5:6], v[5:6]
	s_waitcnt vmcnt(0)
	v_ldexp_f64 v[7:8], v[5:6], s4
	s_mov_b32 s4, 0
	s_mov_b32 s5, 0xc1f00000
	v_floor_f64_e32 v[7:8], v[7:8]
	v_fma_f64 v[5:6], v[7:8], s[4:5], v[5:6]
	v_cvt_i32_f64_e32 v7, v[7:8]
	s_mov_b64 s[4:5], 0
	v_cvt_u32_f64_e32 v6, v[5:6]
	global_store_dwordx2 v[2:3], v[6:7], off
.LBB9_737:
	s_andn2_b64 vcc, exec, s[4:5]
	s_cbranch_vccnz .LBB9_739
; %bb.738:
	buffer_load_dword v5, off, s[0:3], 0 offset:16 ; 4-byte Folded Reload
	buffer_load_dword v6, off, s[0:3], 0 offset:20 ; 4-byte Folded Reload
	;; [unrolled: 1-line block ×4, first 2 shown]
	s_waitcnt vmcnt(2)
	v_cvt_i32_f64_e32 v5, v[5:6]
	global_store_dword v[2:3], v5, off
.LBB9_739:
	s_mov_b64 s[4:5], 0
.LBB9_740:
	s_andn2_b64 vcc, exec, s[4:5]
	s_cbranch_vccnz .LBB9_742
; %bb.741:
	buffer_load_dword v5, off, s[0:3], 0 offset:16 ; 4-byte Folded Reload
	buffer_load_dword v6, off, s[0:3], 0 offset:20 ; 4-byte Folded Reload
	;; [unrolled: 1-line block ×4, first 2 shown]
	s_waitcnt vmcnt(2)
	v_cvt_i32_f64_e32 v5, v[5:6]
	global_store_short v[2:3], v5, off
.LBB9_742:
	s_mov_b64 s[4:5], 0
.LBB9_743:
	s_andn2_b64 vcc, exec, s[4:5]
	s_cbranch_vccnz .LBB9_748
; %bb.744:
	s_cmp_gt_i32 s8, 0
	s_mov_b64 s[4:5], -1
	s_cbranch_scc0 .LBB9_746
; %bb.745:
	buffer_load_dword v5, off, s[0:3], 0 offset:16 ; 4-byte Folded Reload
	buffer_load_dword v6, off, s[0:3], 0 offset:20 ; 4-byte Folded Reload
	;; [unrolled: 1-line block ×4, first 2 shown]
	s_mov_b64 s[4:5], 0
	s_waitcnt vmcnt(2)
	v_cvt_i32_f64_e32 v5, v[5:6]
	global_store_byte v[2:3], v5, off
.LBB9_746:
	s_andn2_b64 vcc, exec, s[4:5]
	s_cbranch_vccnz .LBB9_748
; %bb.747:
	buffer_load_dword v5, off, s[0:3], 0 offset:16 ; 4-byte Folded Reload
	buffer_load_dword v6, off, s[0:3], 0 offset:20 ; 4-byte Folded Reload
	;; [unrolled: 1-line block ×4, first 2 shown]
	s_movk_i32 s4, 0xffe0
	s_waitcnt vmcnt(2)
	v_trunc_f64_e32 v[5:6], v[5:6]
	s_waitcnt vmcnt(0)
	v_ldexp_f64 v[7:8], v[5:6], s4
	s_mov_b32 s4, 0
	s_mov_b32 s5, 0xc1f00000
	v_floor_f64_e32 v[7:8], v[7:8]
	v_fma_f64 v[5:6], v[7:8], s[4:5], v[5:6]
	v_cvt_u32_f64_e32 v5, v[5:6]
	global_store_byte v[2:3], v5, off
.LBB9_748:
.LBB9_749:
	v_add_u32_e32 v4, s17, v4
	v_ashrrev_i32_e32 v3, 31, v4
	v_mov_b32_e32 v5, s37
	v_add_co_u32_e32 v2, vcc, s36, v4
	s_cmp_lt_i32 s16, 11
	v_addc_co_u32_e32 v3, vcc, v5, v3, vcc
	s_cbranch_scc1 .LBB9_904
; %bb.750:
	s_and_b32 s18, 0xffff, s16
	s_mov_b64 s[12:13], -1
	s_mov_b64 s[8:9], 0
	s_cmp_gt_i32 s18, 25
	s_mov_b64 s[10:11], 0
	s_mov_b64 s[4:5], 0
	s_cbranch_scc0 .LBB9_783
; %bb.751:
	s_cmp_gt_i32 s18, 28
	s_cbranch_scc0 .LBB9_766
; %bb.752:
	s_cmp_gt_i32 s18, 43
	;; [unrolled: 3-line block ×3, first 2 shown]
	s_cbranch_scc0 .LBB9_756
; %bb.754:
	s_mov_b64 s[4:5], -1
	s_mov_b64 s[12:13], 0
	s_cmp_eq_u32 s18, 46
	s_cbranch_scc0 .LBB9_756
; %bb.755:
	buffer_load_dword v5, off, s[0:3], 0 offset:32 ; 4-byte Folded Reload
	buffer_load_dword v6, off, s[0:3], 0 offset:36 ; 4-byte Folded Reload
	;; [unrolled: 1-line block ×4, first 2 shown]
	s_movk_i32 s4, 0x7fff
	s_mov_b64 s[10:11], -1
	s_waitcnt vmcnt(2)
	v_cvt_f32_f64_e32 v5, v[5:6]
	v_mov_b32_e32 v6, 0x7fc0
	s_waitcnt vmcnt(1)
	v_bfe_u32 v7, v5, 16, 1
	v_cmp_o_f32_e32 vcc, v5, v5
	v_add3_u32 v5, v5, v7, s4
	v_cndmask_b32_sdwa v5, v6, v5, vcc dst_sel:DWORD dst_unused:UNUSED_PAD src0_sel:DWORD src1_sel:WORD_1
	global_store_dword v[2:3], v5, off
	s_mov_b64 s[4:5], 0
.LBB9_756:
	s_and_b64 vcc, exec, s[12:13]
	s_cbranch_vccz .LBB9_761
; %bb.757:
	s_cmp_eq_u32 s18, 44
	s_mov_b64 s[4:5], -1
	s_cbranch_scc0 .LBB9_761
; %bb.758:
	buffer_load_dword v5, off, s[0:3], 0 offset:32 ; 4-byte Folded Reload
	buffer_load_dword v6, off, s[0:3], 0 offset:36 ; 4-byte Folded Reload
	;; [unrolled: 1-line block ×4, first 2 shown]
	s_movk_i32 s4, 0xff
	s_waitcnt vmcnt(1)
	v_mov_b32_e32 v7, 0xff
	v_cvt_f32_f64_e32 v5, v[5:6]
	v_bfe_u32 v6, v5, 23, 8
	v_cmp_ne_u32_e32 vcc, s4, v6
	s_and_saveexec_b64 s[10:11], vcc
	s_cbranch_execz .LBB9_760
; %bb.759:
	s_mov_b32 s4, 0x3fffff
	v_lshrrev_b32_e32 v7, 23, v5
	s_waitcnt vmcnt(0)
	v_and_b32_e32 v8, 0x400000, v5
	v_and_or_b32 v5, v5, s4, v6
	v_cmp_ne_u32_e32 vcc, 0, v8
	v_cmp_ne_u32_e64 s[4:5], 0, v5
	s_and_b64 s[4:5], vcc, s[4:5]
	v_cndmask_b32_e64 v5, 0, 1, s[4:5]
	v_add_u32_e32 v7, v7, v5
.LBB9_760:
	s_or_b64 exec, exec, s[10:11]
	s_mov_b64 s[4:5], 0
	s_mov_b64 s[10:11], -1
	global_store_byte v[2:3], v7, off
.LBB9_761:
	s_mov_b64 s[12:13], 0
.LBB9_762:
	s_and_b64 vcc, exec, s[12:13]
	s_cbranch_vccz .LBB9_765
; %bb.763:
	s_cmp_eq_u32 s18, 29
	s_mov_b64 s[4:5], -1
	s_cbranch_scc0 .LBB9_765
; %bb.764:
	buffer_load_dword v5, off, s[0:3], 0 offset:32 ; 4-byte Folded Reload
	buffer_load_dword v6, off, s[0:3], 0 offset:36 ; 4-byte Folded Reload
	;; [unrolled: 1-line block ×4, first 2 shown]
	s_movk_i32 s4, 0xffe0
	s_mov_b64 s[10:11], -1
	s_waitcnt vmcnt(2)
	v_trunc_f64_e32 v[5:6], v[5:6]
	s_waitcnt vmcnt(0)
	v_ldexp_f64 v[7:8], v[5:6], s4
	s_mov_b32 s4, 0
	s_mov_b32 s5, 0xc1f00000
	v_floor_f64_e32 v[7:8], v[7:8]
	v_fma_f64 v[5:6], v[7:8], s[4:5], v[5:6]
	v_cvt_u32_f64_e32 v7, v[7:8]
	s_mov_b64 s[4:5], 0
	v_cvt_u32_f64_e32 v6, v[5:6]
	global_store_dwordx2 v[2:3], v[6:7], off
.LBB9_765:
	s_mov_b64 s[12:13], 0
.LBB9_766:
	s_and_b64 vcc, exec, s[12:13]
	s_cbranch_vccz .LBB9_782
; %bb.767:
	s_cmp_lt_i32 s18, 27
	s_mov_b64 s[10:11], -1
	s_cbranch_scc1 .LBB9_773
; %bb.768:
	buffer_load_dword v5, off, s[0:3], 0 offset:32 ; 4-byte Folded Reload
	buffer_load_dword v6, off, s[0:3], 0 offset:36 ; 4-byte Folded Reload
	;; [unrolled: 1-line block ×4, first 2 shown]
	s_cmp_gt_i32 s18, 27
	s_waitcnt vmcnt(2)
	v_cvt_u32_f64_e32 v5, v[5:6]
	s_cbranch_scc0 .LBB9_770
; %bb.769:
	s_mov_b64 s[10:11], 0
	global_store_dword v[2:3], v5, off
.LBB9_770:
	s_andn2_b64 vcc, exec, s[10:11]
	s_cbranch_vccnz .LBB9_772
; %bb.771:
	global_store_short v[2:3], v5, off
.LBB9_772:
	s_mov_b64 s[10:11], 0
.LBB9_773:
	s_andn2_b64 vcc, exec, s[10:11]
	s_cbranch_vccnz .LBB9_781
; %bb.774:
	buffer_load_dword v5, off, s[0:3], 0 offset:32 ; 4-byte Folded Reload
	buffer_load_dword v6, off, s[0:3], 0 offset:36 ; 4-byte Folded Reload
	;; [unrolled: 1-line block ×4, first 2 shown]
	s_mov_b32 s10, 0x43800000
	s_waitcnt vmcnt(1)
	v_mov_b32_e32 v7, 0x80
	v_cvt_f32_f64_e32 v5, v[5:6]
	v_and_b32_e32 v6, 0x7fffffff, v5
	v_cmp_gt_u32_e32 vcc, s10, v6
	s_and_saveexec_b64 s[10:11], vcc
	s_cbranch_execz .LBB9_780
; %bb.775:
	s_mov_b32 s12, 0x3bffffff
	v_cmp_lt_u32_e32 vcc, s12, v6
	s_mov_b64 s[12:13], 0
                                        ; implicit-def: $vgpr6
	s_and_saveexec_b64 s[14:15], vcc
	s_xor_b64 s[14:15], exec, s[14:15]
	s_cbranch_execz .LBB9_999
; %bb.776:
	v_bfe_u32 v6, v5, 20, 1
	s_mov_b32 s19, 0x487ffff
	v_add3_u32 v6, v5, v6, s19
	s_mov_b64 s[12:13], exec
	v_lshrrev_b32_e32 v6, 20, v6
	s_andn2_saveexec_b64 s[14:15], s[14:15]
	s_cbranch_execnz .LBB9_1000
.LBB9_777:
	s_or_b64 exec, exec, s[14:15]
	v_mov_b32_e32 v7, 0
	s_and_saveexec_b64 s[14:15], s[12:13]
.LBB9_778:
	v_lshrrev_b32_e32 v5, 24, v5
	s_movk_i32 s12, 0x80
	v_and_or_b32 v7, v5, s12, v6
.LBB9_779:
	s_or_b64 exec, exec, s[14:15]
.LBB9_780:
	s_or_b64 exec, exec, s[10:11]
	global_store_byte v[2:3], v7, off
.LBB9_781:
	s_mov_b64 s[10:11], -1
.LBB9_782:
	s_mov_b64 s[12:13], 0
.LBB9_783:
	s_and_b64 vcc, exec, s[12:13]
	s_cbranch_vccz .LBB9_823
; %bb.784:
	s_cmp_gt_i32 s18, 22
	s_mov_b64 s[8:9], -1
	s_cbranch_scc0 .LBB9_816
; %bb.785:
	s_cmp_lt_i32 s18, 24
	s_cbranch_scc1 .LBB9_805
; %bb.786:
	s_cmp_gt_i32 s18, 24
	s_cbranch_scc0 .LBB9_794
; %bb.787:
	buffer_load_dword v5, off, s[0:3], 0 offset:32 ; 4-byte Folded Reload
	buffer_load_dword v6, off, s[0:3], 0 offset:36 ; 4-byte Folded Reload
	;; [unrolled: 1-line block ×4, first 2 shown]
	s_mov_b32 s8, 0x47800000
	s_waitcnt vmcnt(1)
	v_mov_b32_e32 v7, 0x80
	v_cvt_f32_f64_e32 v5, v[5:6]
	v_and_b32_e32 v6, 0x7fffffff, v5
	v_cmp_gt_u32_e32 vcc, s8, v6
	s_and_saveexec_b64 s[8:9], vcc
	s_cbranch_execz .LBB9_793
; %bb.788:
	s_mov_b32 s10, 0x37ffffff
	v_cmp_lt_u32_e32 vcc, s10, v6
	s_mov_b64 s[10:11], 0
                                        ; implicit-def: $vgpr6
	s_and_saveexec_b64 s[12:13], vcc
	s_xor_b64 s[12:13], exec, s[12:13]
	s_cbranch_execz .LBB9_1002
; %bb.789:
	v_bfe_u32 v6, v5, 21, 1
	s_mov_b32 s14, 0x88fffff
	v_add3_u32 v6, v5, v6, s14
	s_mov_b64 s[10:11], exec
	v_lshrrev_b32_e32 v6, 21, v6
	s_andn2_saveexec_b64 s[12:13], s[12:13]
	s_cbranch_execnz .LBB9_1003
.LBB9_790:
	s_or_b64 exec, exec, s[12:13]
	v_mov_b32_e32 v7, 0
	s_and_saveexec_b64 s[12:13], s[10:11]
.LBB9_791:
	v_lshrrev_b32_e32 v5, 24, v5
	s_movk_i32 s10, 0x80
	v_and_or_b32 v7, v5, s10, v6
.LBB9_792:
	s_or_b64 exec, exec, s[12:13]
.LBB9_793:
	s_or_b64 exec, exec, s[8:9]
	s_mov_b64 s[8:9], 0
	global_store_byte v[2:3], v7, off
.LBB9_794:
	s_and_b64 vcc, exec, s[8:9]
	s_cbranch_vccz .LBB9_804
; %bb.795:
	buffer_load_dword v5, off, s[0:3], 0 offset:32 ; 4-byte Folded Reload
	buffer_load_dword v6, off, s[0:3], 0 offset:36 ; 4-byte Folded Reload
	;; [unrolled: 1-line block ×4, first 2 shown]
	s_mov_b32 s8, 0x43f00000
	s_waitcnt vmcnt(2)
	v_cvt_f32_f64_e32 v5, v[5:6]
                                        ; implicit-def: $vgpr6
	s_waitcnt vmcnt(1)
	v_and_b32_e32 v7, 0x7fffffff, v5
	v_cmp_gt_u32_e32 vcc, s8, v7
	s_and_saveexec_b64 s[8:9], vcc
	s_xor_b64 s[8:9], exec, s[8:9]
	s_cbranch_execz .LBB9_801
; %bb.796:
	s_mov_b32 s10, 0x3c7fffff
	v_cmp_lt_u32_e32 vcc, s10, v7
                                        ; implicit-def: $vgpr6
	s_and_saveexec_b64 s[10:11], vcc
	s_xor_b64 s[10:11], exec, s[10:11]
	s_cbranch_execz .LBB9_798
; %bb.797:
	v_bfe_u32 v6, v5, 20, 1
	s_mov_b32 s12, 0x407ffff
	v_add3_u32 v6, v5, v6, s12
	v_lshrrev_b32_e32 v7, 20, v6
	v_and_b32_e32 v6, 0xff00000, v6
	s_mov_b32 s12, 0x7f00000
	s_waitcnt vmcnt(0)
	v_mov_b32_e32 v8, 0x7e
	v_cmp_ne_u32_e32 vcc, s12, v6
	v_cndmask_b32_e32 v6, v8, v7, vcc
.LBB9_798:
	s_andn2_saveexec_b64 s[10:11], s[10:11]
; %bb.799:
	s_mov_b32 s12, 0x46800000
	v_add_f32_e64 v6, |v5|, s12
; %bb.800:
	s_or_b64 exec, exec, s[10:11]
                                        ; implicit-def: $vgpr7
.LBB9_801:
	s_andn2_saveexec_b64 s[8:9], s[8:9]
	s_cbranch_execz .LBB9_803
; %bb.802:
	s_mov_b32 s10, 0x7f800000
	v_mov_b32_e32 v6, 0x7e
	s_waitcnt vmcnt(0)
	v_mov_b32_e32 v8, 0x7f
	v_cmp_lt_u32_e32 vcc, s10, v7
	v_cndmask_b32_e32 v6, v6, v8, vcc
.LBB9_803:
	s_or_b64 exec, exec, s[8:9]
	v_lshrrev_b32_e32 v5, 24, v5
	s_movk_i32 s8, 0x80
	v_and_or_b32 v5, v5, s8, v6
	global_store_byte v[2:3], v5, off
.LBB9_804:
	s_mov_b64 s[8:9], 0
.LBB9_805:
	s_andn2_b64 vcc, exec, s[8:9]
	s_cbranch_vccnz .LBB9_815
; %bb.806:
	buffer_load_dword v5, off, s[0:3], 0 offset:32 ; 4-byte Folded Reload
	buffer_load_dword v6, off, s[0:3], 0 offset:36 ; 4-byte Folded Reload
	buffer_load_dword v7, off, s[0:3], 0 offset:40 ; 4-byte Folded Reload
	buffer_load_dword v8, off, s[0:3], 0 offset:44 ; 4-byte Folded Reload
	s_mov_b32 s8, 0x47800000
	s_waitcnt vmcnt(2)
	v_cvt_f32_f64_e32 v5, v[5:6]
                                        ; implicit-def: $vgpr6
	s_waitcnt vmcnt(1)
	v_and_b32_e32 v7, 0x7fffffff, v5
	v_cmp_gt_u32_e32 vcc, s8, v7
	s_and_saveexec_b64 s[8:9], vcc
	s_xor_b64 s[8:9], exec, s[8:9]
	s_cbranch_execz .LBB9_812
; %bb.807:
	s_mov_b32 s10, 0x387fffff
	v_cmp_lt_u32_e32 vcc, s10, v7
                                        ; implicit-def: $vgpr6
	s_and_saveexec_b64 s[10:11], vcc
	s_xor_b64 s[10:11], exec, s[10:11]
; %bb.808:
	v_bfe_u32 v6, v5, 21, 1
	s_mov_b32 s12, 0x80fffff
	v_add3_u32 v6, v5, v6, s12
	v_lshrrev_b32_e32 v6, 21, v6
; %bb.809:
	s_andn2_saveexec_b64 s[10:11], s[10:11]
; %bb.810:
	s_mov_b32 s12, 0x43000000
	v_add_f32_e64 v6, |v5|, s12
; %bb.811:
	s_or_b64 exec, exec, s[10:11]
                                        ; implicit-def: $vgpr7
.LBB9_812:
	s_andn2_saveexec_b64 s[8:9], s[8:9]
	s_cbranch_execz .LBB9_814
; %bb.813:
	s_mov_b32 s10, 0x7f800000
	v_mov_b32_e32 v6, 0x7c
	s_waitcnt vmcnt(0)
	v_mov_b32_e32 v8, 0x7f
	v_cmp_lt_u32_e32 vcc, s10, v7
	v_cndmask_b32_e32 v6, v6, v8, vcc
.LBB9_814:
	s_or_b64 exec, exec, s[8:9]
	v_lshrrev_b32_e32 v5, 24, v5
	s_movk_i32 s8, 0x80
	v_and_or_b32 v5, v5, s8, v6
	global_store_byte v[2:3], v5, off
.LBB9_815:
	s_mov_b64 s[8:9], 0
	s_mov_b64 s[10:11], -1
.LBB9_816:
	s_andn2_b64 vcc, exec, s[8:9]
	s_mov_b64 s[8:9], 0
	s_cbranch_vccnz .LBB9_823
; %bb.817:
	s_cmp_gt_i32 s18, 14
	s_mov_b64 s[12:13], -1
	s_cbranch_scc0 .LBB9_821
; %bb.818:
	s_cmp_eq_u32 s18, 15
	s_mov_b64 s[4:5], -1
	s_cbranch_scc0 .LBB9_820
; %bb.819:
	buffer_load_dword v5, off, s[0:3], 0 offset:32 ; 4-byte Folded Reload
	buffer_load_dword v6, off, s[0:3], 0 offset:36 ; 4-byte Folded Reload
	;; [unrolled: 1-line block ×4, first 2 shown]
	s_movk_i32 s4, 0x7fff
	s_mov_b64 s[10:11], -1
	s_waitcnt vmcnt(2)
	v_cvt_f32_f64_e32 v5, v[5:6]
	v_mov_b32_e32 v6, 0x7fc0
	s_waitcnt vmcnt(1)
	v_bfe_u32 v7, v5, 16, 1
	v_cmp_o_f32_e32 vcc, v5, v5
	v_add3_u32 v5, v5, v7, s4
	v_cndmask_b32_sdwa v5, v6, v5, vcc dst_sel:DWORD dst_unused:UNUSED_PAD src0_sel:DWORD src1_sel:WORD_1
	global_store_short v[2:3], v5, off
	s_mov_b64 s[4:5], 0
.LBB9_820:
	s_mov_b64 s[12:13], 0
.LBB9_821:
	s_and_b64 vcc, exec, s[12:13]
	s_cbranch_vccz .LBB9_823
; %bb.822:
	s_cmp_lg_u32 s18, 11
	s_mov_b64 s[8:9], -1
	s_cselect_b64 s[4:5], -1, 0
.LBB9_823:
	s_and_b64 vcc, exec, s[4:5]
	s_cbranch_vccnz .LBB9_1001
; %bb.824:
	s_andn2_b64 vcc, exec, s[8:9]
	s_cbranch_vccnz .LBB9_826
.LBB9_825:
	buffer_load_dword v5, off, s[0:3], 0 offset:32 ; 4-byte Folded Reload
	buffer_load_dword v6, off, s[0:3], 0 offset:36 ; 4-byte Folded Reload
	;; [unrolled: 1-line block ×4, first 2 shown]
	s_mov_b64 s[10:11], -1
	s_waitcnt vmcnt(2)
	v_cmp_neq_f64_e32 vcc, 0, v[5:6]
	v_cndmask_b32_e64 v5, 0, 1, vcc
	global_store_byte v[2:3], v5, off
.LBB9_826:
.LBB9_827:
	s_andn2_b64 vcc, exec, s[10:11]
	s_cbranch_vccnz .LBB9_943
.LBB9_828:
	v_add_u32_e32 v2, s17, v4
	v_ashrrev_i32_e32 v3, 31, v2
	v_mov_b32_e32 v5, s37
	v_add_co_u32_e32 v4, vcc, s36, v2
	s_cmp_lt_i32 s16, 11
	v_addc_co_u32_e32 v5, vcc, v5, v3, vcc
	s_cbranch_scc1 .LBB9_988
; %bb.829:
	s_and_b32 s17, 0xffff, s16
	s_mov_b64 s[10:11], -1
	s_mov_b64 s[8:9], 0
	s_cmp_gt_i32 s17, 25
	s_mov_b64 s[4:5], 0
	s_cbranch_scc0 .LBB9_862
; %bb.830:
	s_cmp_gt_i32 s17, 28
	s_cbranch_scc0 .LBB9_846
; %bb.831:
	s_cmp_gt_i32 s17, 43
	;; [unrolled: 3-line block ×3, first 2 shown]
	s_cbranch_scc0 .LBB9_836
; %bb.833:
	s_cmp_eq_u32 s17, 46
	s_mov_b64 s[4:5], -1
	s_cbranch_scc0 .LBB9_835
; %bb.834:
	v_cvt_f32_f64_e32 v2, v[0:1]
	s_movk_i32 s4, 0x7fff
	v_mov_b32_e32 v3, 0x7fc0
	v_bfe_u32 v6, v2, 16, 1
	v_cmp_o_f32_e32 vcc, v2, v2
	v_add3_u32 v2, v2, v6, s4
	v_cndmask_b32_sdwa v2, v3, v2, vcc dst_sel:DWORD dst_unused:UNUSED_PAD src0_sel:DWORD src1_sel:WORD_1
	global_store_dword v[4:5], v2, off
	s_mov_b64 s[4:5], 0
.LBB9_835:
	s_mov_b64 s[10:11], 0
.LBB9_836:
	s_and_b64 vcc, exec, s[10:11]
	s_cbranch_vccz .LBB9_841
; %bb.837:
	s_cmp_eq_u32 s17, 44
	s_mov_b64 s[4:5], -1
	s_cbranch_scc0 .LBB9_841
; %bb.838:
	v_cvt_f32_f64_e32 v2, v[0:1]
	s_movk_i32 s4, 0xff
	v_mov_b32_e32 v6, 0xff
	v_bfe_u32 v3, v2, 23, 8
	v_cmp_ne_u32_e32 vcc, s4, v3
	s_and_saveexec_b64 s[10:11], vcc
	s_cbranch_execz .LBB9_840
; %bb.839:
	s_mov_b32 s4, 0x3fffff
	v_lshrrev_b32_e32 v6, 23, v2
	s_waitcnt vmcnt(1)
	v_and_b32_e32 v7, 0x400000, v2
	v_and_or_b32 v2, v2, s4, v3
	v_cmp_ne_u32_e32 vcc, 0, v7
	v_cmp_ne_u32_e64 s[4:5], 0, v2
	s_and_b64 s[4:5], vcc, s[4:5]
	v_cndmask_b32_e64 v2, 0, 1, s[4:5]
	v_add_u32_e32 v6, v6, v2
.LBB9_840:
	s_or_b64 exec, exec, s[10:11]
	s_mov_b64 s[4:5], 0
	global_store_byte v[4:5], v6, off
.LBB9_841:
	s_mov_b64 s[10:11], 0
.LBB9_842:
	s_and_b64 vcc, exec, s[10:11]
	s_cbranch_vccz .LBB9_845
; %bb.843:
	s_cmp_eq_u32 s17, 29
	s_mov_b64 s[4:5], -1
	s_cbranch_scc0 .LBB9_845
; %bb.844:
	v_trunc_f64_e32 v[2:3], v[0:1]
	s_movk_i32 s4, 0xffe0
	s_waitcnt vmcnt(1)
	v_ldexp_f64 v[6:7], v[2:3], s4
	s_mov_b32 s4, 0
	s_mov_b32 s5, 0xc1f00000
	v_floor_f64_e32 v[6:7], v[6:7]
	v_fma_f64 v[2:3], v[6:7], s[4:5], v[2:3]
	v_cvt_u32_f64_e32 v7, v[6:7]
	s_mov_b64 s[4:5], 0
	v_cvt_u32_f64_e32 v6, v[2:3]
	global_store_dwordx2 v[4:5], v[6:7], off
.LBB9_845:
	s_mov_b64 s[10:11], 0
.LBB9_846:
	s_and_b64 vcc, exec, s[10:11]
	s_cbranch_vccz .LBB9_861
; %bb.847:
	s_cmp_lt_i32 s17, 27
	s_mov_b64 s[10:11], -1
	s_cbranch_scc1 .LBB9_853
; %bb.848:
	v_cvt_u32_f64_e32 v2, v[0:1]
	s_cmp_gt_i32 s17, 27
	s_cbranch_scc0 .LBB9_850
; %bb.849:
	global_store_dword v[4:5], v2, off
	s_mov_b64 s[10:11], 0
.LBB9_850:
	s_andn2_b64 vcc, exec, s[10:11]
	s_cbranch_vccnz .LBB9_852
; %bb.851:
	global_store_short v[4:5], v2, off
.LBB9_852:
	s_mov_b64 s[10:11], 0
.LBB9_853:
	s_andn2_b64 vcc, exec, s[10:11]
	s_cbranch_vccnz .LBB9_861
; %bb.854:
	v_cvt_f32_f64_e32 v2, v[0:1]
	s_mov_b32 s10, 0x43800000
	v_mov_b32_e32 v6, 0x80
	v_and_b32_e32 v3, 0x7fffffff, v2
	v_cmp_gt_u32_e32 vcc, s10, v3
	s_and_saveexec_b64 s[10:11], vcc
	s_cbranch_execz .LBB9_860
; %bb.855:
	s_mov_b32 s12, 0x3bffffff
	v_cmp_lt_u32_e32 vcc, s12, v3
	s_mov_b64 s[12:13], 0
                                        ; implicit-def: $vgpr3
	s_and_saveexec_b64 s[14:15], vcc
	s_xor_b64 s[14:15], exec, s[14:15]
	s_cbranch_execz .LBB9_1004
; %bb.856:
	v_bfe_u32 v3, v2, 20, 1
	s_mov_b32 s18, 0x487ffff
	v_add3_u32 v3, v2, v3, s18
	s_mov_b64 s[12:13], exec
	v_lshrrev_b32_e32 v3, 20, v3
	s_andn2_saveexec_b64 s[14:15], s[14:15]
	s_cbranch_execnz .LBB9_1005
.LBB9_857:
	s_or_b64 exec, exec, s[14:15]
	v_mov_b32_e32 v6, 0
	s_and_saveexec_b64 s[14:15], s[12:13]
.LBB9_858:
	v_lshrrev_b32_e32 v2, 24, v2
	s_movk_i32 s12, 0x80
	v_and_or_b32 v6, v2, s12, v3
.LBB9_859:
	s_or_b64 exec, exec, s[14:15]
.LBB9_860:
	s_or_b64 exec, exec, s[10:11]
	global_store_byte v[4:5], v6, off
.LBB9_861:
	s_mov_b64 s[10:11], 0
.LBB9_862:
	s_and_b64 vcc, exec, s[10:11]
	s_cbranch_vccz .LBB9_902
; %bb.863:
	s_cmp_gt_i32 s17, 22
	s_mov_b64 s[8:9], -1
	s_cbranch_scc0 .LBB9_895
; %bb.864:
	s_cmp_lt_i32 s17, 24
	s_cbranch_scc1 .LBB9_884
; %bb.865:
	s_cmp_gt_i32 s17, 24
	s_cbranch_scc0 .LBB9_873
; %bb.866:
	v_cvt_f32_f64_e32 v2, v[0:1]
	s_mov_b32 s8, 0x47800000
	v_mov_b32_e32 v6, 0x80
	v_and_b32_e32 v3, 0x7fffffff, v2
	v_cmp_gt_u32_e32 vcc, s8, v3
	s_and_saveexec_b64 s[8:9], vcc
	s_cbranch_execz .LBB9_872
; %bb.867:
	s_mov_b32 s10, 0x37ffffff
	v_cmp_lt_u32_e32 vcc, s10, v3
	s_mov_b64 s[10:11], 0
                                        ; implicit-def: $vgpr3
	s_and_saveexec_b64 s[12:13], vcc
	s_xor_b64 s[12:13], exec, s[12:13]
	s_cbranch_execz .LBB9_1009
; %bb.868:
	v_bfe_u32 v3, v2, 21, 1
	s_mov_b32 s14, 0x88fffff
	v_add3_u32 v3, v2, v3, s14
	s_mov_b64 s[10:11], exec
	v_lshrrev_b32_e32 v3, 21, v3
	s_andn2_saveexec_b64 s[12:13], s[12:13]
	s_cbranch_execnz .LBB9_1010
.LBB9_869:
	s_or_b64 exec, exec, s[12:13]
	v_mov_b32_e32 v6, 0
	s_and_saveexec_b64 s[12:13], s[10:11]
.LBB9_870:
	v_lshrrev_b32_e32 v2, 24, v2
	s_movk_i32 s10, 0x80
	v_and_or_b32 v6, v2, s10, v3
.LBB9_871:
	s_or_b64 exec, exec, s[12:13]
.LBB9_872:
	s_or_b64 exec, exec, s[8:9]
	s_mov_b64 s[8:9], 0
	global_store_byte v[4:5], v6, off
.LBB9_873:
	s_and_b64 vcc, exec, s[8:9]
	s_cbranch_vccz .LBB9_883
; %bb.874:
	v_cvt_f32_f64_e32 v2, v[0:1]
	s_mov_b32 s8, 0x43f00000
                                        ; implicit-def: $vgpr3
	v_and_b32_e32 v6, 0x7fffffff, v2
	v_cmp_gt_u32_e32 vcc, s8, v6
	s_and_saveexec_b64 s[8:9], vcc
	s_xor_b64 s[8:9], exec, s[8:9]
	s_cbranch_execz .LBB9_880
; %bb.875:
	s_mov_b32 s10, 0x3c7fffff
	v_cmp_lt_u32_e32 vcc, s10, v6
                                        ; implicit-def: $vgpr3
	s_and_saveexec_b64 s[10:11], vcc
	s_xor_b64 s[10:11], exec, s[10:11]
	s_cbranch_execz .LBB9_877
; %bb.876:
	v_bfe_u32 v3, v2, 20, 1
	s_mov_b32 s12, 0x407ffff
	v_add3_u32 v3, v2, v3, s12
	v_lshrrev_b32_e32 v6, 20, v3
	v_and_b32_e32 v3, 0xff00000, v3
	s_mov_b32 s12, 0x7f00000
	s_waitcnt vmcnt(1)
	v_mov_b32_e32 v7, 0x7e
	v_cmp_ne_u32_e32 vcc, s12, v3
	v_cndmask_b32_e32 v3, v7, v6, vcc
.LBB9_877:
	s_andn2_saveexec_b64 s[10:11], s[10:11]
; %bb.878:
	s_mov_b32 s12, 0x46800000
	v_add_f32_e64 v3, |v2|, s12
; %bb.879:
	s_or_b64 exec, exec, s[10:11]
                                        ; implicit-def: $vgpr6
.LBB9_880:
	s_andn2_saveexec_b64 s[8:9], s[8:9]
	s_cbranch_execz .LBB9_882
; %bb.881:
	s_mov_b32 s10, 0x7f800000
	v_mov_b32_e32 v3, 0x7e
	s_waitcnt vmcnt(1)
	v_mov_b32_e32 v7, 0x7f
	v_cmp_lt_u32_e32 vcc, s10, v6
	v_cndmask_b32_e32 v3, v3, v7, vcc
.LBB9_882:
	s_or_b64 exec, exec, s[8:9]
	v_lshrrev_b32_e32 v2, 24, v2
	s_movk_i32 s8, 0x80
	v_and_or_b32 v2, v2, s8, v3
	global_store_byte v[4:5], v2, off
.LBB9_883:
	s_mov_b64 s[8:9], 0
.LBB9_884:
	s_andn2_b64 vcc, exec, s[8:9]
	s_cbranch_vccnz .LBB9_894
; %bb.885:
	v_cvt_f32_f64_e32 v2, v[0:1]
	s_mov_b32 s8, 0x47800000
                                        ; implicit-def: $vgpr3
	v_and_b32_e32 v6, 0x7fffffff, v2
	v_cmp_gt_u32_e32 vcc, s8, v6
	s_and_saveexec_b64 s[8:9], vcc
	s_xor_b64 s[8:9], exec, s[8:9]
	s_cbranch_execz .LBB9_891
; %bb.886:
	s_mov_b32 s10, 0x387fffff
	v_cmp_lt_u32_e32 vcc, s10, v6
                                        ; implicit-def: $vgpr3
	s_and_saveexec_b64 s[10:11], vcc
	s_xor_b64 s[10:11], exec, s[10:11]
; %bb.887:
	v_bfe_u32 v3, v2, 21, 1
	s_mov_b32 s12, 0x80fffff
	v_add3_u32 v3, v2, v3, s12
	v_lshrrev_b32_e32 v3, 21, v3
; %bb.888:
	s_andn2_saveexec_b64 s[10:11], s[10:11]
; %bb.889:
	s_mov_b32 s12, 0x43000000
	v_add_f32_e64 v3, |v2|, s12
; %bb.890:
	s_or_b64 exec, exec, s[10:11]
                                        ; implicit-def: $vgpr6
.LBB9_891:
	s_andn2_saveexec_b64 s[8:9], s[8:9]
	s_cbranch_execz .LBB9_893
; %bb.892:
	s_mov_b32 s10, 0x7f800000
	v_mov_b32_e32 v3, 0x7c
	s_waitcnt vmcnt(1)
	v_mov_b32_e32 v7, 0x7f
	v_cmp_lt_u32_e32 vcc, s10, v6
	v_cndmask_b32_e32 v3, v3, v7, vcc
.LBB9_893:
	s_or_b64 exec, exec, s[8:9]
	v_lshrrev_b32_e32 v2, 24, v2
	s_movk_i32 s8, 0x80
	v_and_or_b32 v2, v2, s8, v3
	global_store_byte v[4:5], v2, off
.LBB9_894:
	s_mov_b64 s[8:9], 0
.LBB9_895:
	s_andn2_b64 vcc, exec, s[8:9]
	s_mov_b64 s[8:9], 0
	s_cbranch_vccnz .LBB9_902
; %bb.896:
	s_cmp_gt_i32 s17, 14
	s_mov_b64 s[10:11], -1
	s_cbranch_scc0 .LBB9_900
; %bb.897:
	s_cmp_eq_u32 s17, 15
	s_mov_b64 s[4:5], -1
	s_cbranch_scc0 .LBB9_899
; %bb.898:
	v_cvt_f32_f64_e32 v2, v[0:1]
	s_movk_i32 s4, 0x7fff
	v_mov_b32_e32 v3, 0x7fc0
	v_bfe_u32 v6, v2, 16, 1
	v_cmp_o_f32_e32 vcc, v2, v2
	v_add3_u32 v2, v2, v6, s4
	v_cndmask_b32_sdwa v2, v3, v2, vcc dst_sel:DWORD dst_unused:UNUSED_PAD src0_sel:DWORD src1_sel:WORD_1
	global_store_short v[4:5], v2, off
	s_mov_b64 s[4:5], 0
.LBB9_899:
	s_mov_b64 s[10:11], 0
.LBB9_900:
	s_and_b64 vcc, exec, s[10:11]
	s_cbranch_vccz .LBB9_902
; %bb.901:
	s_cmp_lg_u32 s17, 11
	s_mov_b64 s[8:9], -1
	s_cselect_b64 s[4:5], -1, 0
.LBB9_902:
	s_and_b64 vcc, exec, s[4:5]
	s_cbranch_vccnz .LBB9_1006
.LBB9_903:
	s_mov_b64 s[4:5], 0
	s_branch .LBB9_944
.LBB9_904:
	s_mov_b64 s[10:11], 0
	s_cbranch_execz .LBB9_827
; %bb.905:
	s_and_b32 s8, 0xffff, s16
	s_cmp_lt_i32 s8, 5
	s_mov_b64 s[4:5], -1
	s_cbranch_scc1 .LBB9_926
; %bb.906:
	s_cmp_lt_i32 s8, 8
	s_cbranch_scc1 .LBB9_916
; %bb.907:
	s_cmp_lt_i32 s8, 9
	s_cbranch_scc1 .LBB9_913
; %bb.908:
	s_cmp_gt_i32 s8, 9
	s_cbranch_scc0 .LBB9_910
; %bb.909:
	buffer_load_dword v5, off, s[0:3], 0 offset:32 ; 4-byte Folded Reload
	buffer_load_dword v6, off, s[0:3], 0 offset:36 ; 4-byte Folded Reload
	;; [unrolled: 1-line block ×4, first 2 shown]
	v_mov_b32_e32 v9, 0
	s_waitcnt vmcnt(7)
	v_mov_b32_e32 v10, v9
	s_mov_b64 s[4:5], 0
	s_waitcnt vmcnt(0)
	v_mov_b32_e32 v8, v6
	v_mov_b32_e32 v7, v5
	buffer_store_dword v5, off, s[0:3], 0 offset:32 ; 4-byte Folded Spill
	s_nop 0
	buffer_store_dword v6, off, s[0:3], 0 offset:36 ; 4-byte Folded Spill
	buffer_store_dword v7, off, s[0:3], 0 offset:40 ; 4-byte Folded Spill
	;; [unrolled: 1-line block ×3, first 2 shown]
	global_store_dwordx4 v[2:3], v[7:10], off
.LBB9_910:
	s_andn2_b64 vcc, exec, s[4:5]
	s_cbranch_vccnz .LBB9_912
; %bb.911:
	buffer_load_dword v5, off, s[0:3], 0 offset:32 ; 4-byte Folded Reload
	buffer_load_dword v6, off, s[0:3], 0 offset:36 ; 4-byte Folded Reload
	;; [unrolled: 1-line block ×4, first 2 shown]
	s_waitcnt vmcnt(2)
	v_cvt_f32_f64_e32 v5, v[5:6]
	v_mov_b32_e32 v6, 0
	global_store_dwordx2 v[2:3], v[5:6], off
.LBB9_912:
	s_mov_b64 s[4:5], 0
.LBB9_913:
	s_andn2_b64 vcc, exec, s[4:5]
	s_cbranch_vccnz .LBB9_915
; %bb.914:
	buffer_load_dword v5, off, s[0:3], 0 offset:32 ; 4-byte Folded Reload
	buffer_load_dword v6, off, s[0:3], 0 offset:36 ; 4-byte Folded Reload
	;; [unrolled: 1-line block ×4, first 2 shown]
	s_movk_i32 s4, 0x1ff
	s_waitcnt vmcnt(2)
	v_mov_b32_e32 v10, v6
	v_mov_b32_e32 v9, v5
	v_and_or_b32 v5, v10, s4, v9
	v_cmp_ne_u32_e32 vcc, 0, v5
	v_cndmask_b32_e64 v5, 0, 1, vcc
	v_lshrrev_b32_e32 v6, 8, v10
	s_movk_i32 s4, 0xffe
	s_waitcnt vmcnt(1)
	v_bfe_u32 v7, v10, 20, 11
	v_and_or_b32 v5, v6, s4, v5
	s_waitcnt vmcnt(0)
	v_sub_u32_e32 v8, 0x3f1, v7
	v_or_b32_e32 v6, 0x1000, v5
	v_med3_i32 v8, v8, 0, 13
	v_lshrrev_b32_e32 v9, v8, v6
	v_lshlrev_b32_e32 v8, v8, v9
	v_cmp_ne_u32_e32 vcc, v8, v6
	v_cndmask_b32_e64 v6, 0, 1, vcc
	v_add_u32_e32 v7, 0xfffffc10, v7
	v_or_b32_e32 v6, v9, v6
	v_lshl_or_b32 v8, v7, 12, v5
	v_cmp_gt_i32_e32 vcc, 1, v7
	v_cndmask_b32_e32 v6, v8, v6, vcc
	v_and_b32_e32 v8, 7, v6
	v_cmp_lt_i32_e32 vcc, 5, v8
	v_cndmask_b32_e64 v9, 0, 1, vcc
	v_cmp_eq_u32_e32 vcc, 3, v8
	v_cndmask_b32_e64 v8, 0, 1, vcc
	v_or_b32_e32 v8, v8, v9
	v_lshrrev_b32_e32 v6, 2, v6
	v_add_u32_e32 v6, v6, v8
	v_mov_b32_e32 v8, 0x7c00
	v_cmp_gt_i32_e32 vcc, 31, v7
	v_cndmask_b32_e32 v6, v8, v6, vcc
	v_mov_b32_e32 v9, 0x7e00
	v_cmp_ne_u32_e32 vcc, 0, v5
	s_movk_i32 s4, 0x40f
	v_cndmask_b32_e32 v5, v8, v9, vcc
	v_cmp_eq_u32_e32 vcc, s4, v7
	v_cndmask_b32_e32 v5, v6, v5, vcc
	v_lshrrev_b32_e32 v6, 16, v10
	s_mov_b32 s4, 0x8000
	v_and_or_b32 v5, v6, s4, v5
	v_and_b32_e32 v5, 0xffff, v5
	global_store_dword v[2:3], v5, off
.LBB9_915:
	s_mov_b64 s[4:5], 0
.LBB9_916:
	s_andn2_b64 vcc, exec, s[4:5]
	s_cbranch_vccnz .LBB9_925
; %bb.917:
	s_cmp_lt_i32 s8, 6
	s_mov_b64 s[4:5], -1
	s_cbranch_scc1 .LBB9_923
; %bb.918:
	s_cmp_gt_i32 s8, 6
	s_cbranch_scc0 .LBB9_920
; %bb.919:
	buffer_load_dword v5, off, s[0:3], 0 offset:32 ; 4-byte Folded Reload
	buffer_load_dword v6, off, s[0:3], 0 offset:36 ; 4-byte Folded Reload
	;; [unrolled: 1-line block ×4, first 2 shown]
	s_mov_b64 s[4:5], 0
	s_waitcnt vmcnt(2)
	global_store_dwordx2 v[2:3], v[5:6], off
.LBB9_920:
	s_andn2_b64 vcc, exec, s[4:5]
	s_cbranch_vccnz .LBB9_922
; %bb.921:
	buffer_load_dword v5, off, s[0:3], 0 offset:32 ; 4-byte Folded Reload
	buffer_load_dword v6, off, s[0:3], 0 offset:36 ; 4-byte Folded Reload
	;; [unrolled: 1-line block ×4, first 2 shown]
	s_waitcnt vmcnt(2)
	v_cvt_f32_f64_e32 v5, v[5:6]
	global_store_dword v[2:3], v5, off
.LBB9_922:
	s_mov_b64 s[4:5], 0
.LBB9_923:
	s_andn2_b64 vcc, exec, s[4:5]
	s_cbranch_vccnz .LBB9_925
; %bb.924:
	buffer_load_dword v5, off, s[0:3], 0 offset:32 ; 4-byte Folded Reload
	buffer_load_dword v6, off, s[0:3], 0 offset:36 ; 4-byte Folded Reload
	;; [unrolled: 1-line block ×4, first 2 shown]
	s_movk_i32 s4, 0x1ff
	s_waitcnt vmcnt(2)
	v_mov_b32_e32 v10, v6
	v_mov_b32_e32 v9, v5
	v_and_or_b32 v5, v10, s4, v9
	v_cmp_ne_u32_e32 vcc, 0, v5
	v_cndmask_b32_e64 v5, 0, 1, vcc
	v_lshrrev_b32_e32 v6, 8, v10
	s_movk_i32 s4, 0xffe
	s_waitcnt vmcnt(1)
	v_bfe_u32 v7, v10, 20, 11
	v_and_or_b32 v5, v6, s4, v5
	s_waitcnt vmcnt(0)
	v_sub_u32_e32 v8, 0x3f1, v7
	v_or_b32_e32 v6, 0x1000, v5
	v_med3_i32 v8, v8, 0, 13
	v_lshrrev_b32_e32 v9, v8, v6
	v_lshlrev_b32_e32 v8, v8, v9
	v_cmp_ne_u32_e32 vcc, v8, v6
	v_cndmask_b32_e64 v6, 0, 1, vcc
	v_add_u32_e32 v7, 0xfffffc10, v7
	v_or_b32_e32 v6, v9, v6
	v_lshl_or_b32 v8, v7, 12, v5
	v_cmp_gt_i32_e32 vcc, 1, v7
	v_cndmask_b32_e32 v6, v8, v6, vcc
	v_and_b32_e32 v8, 7, v6
	v_cmp_lt_i32_e32 vcc, 5, v8
	v_cndmask_b32_e64 v9, 0, 1, vcc
	v_cmp_eq_u32_e32 vcc, 3, v8
	v_cndmask_b32_e64 v8, 0, 1, vcc
	v_or_b32_e32 v8, v8, v9
	v_lshrrev_b32_e32 v6, 2, v6
	v_add_u32_e32 v6, v6, v8
	v_mov_b32_e32 v8, 0x7c00
	v_cmp_gt_i32_e32 vcc, 31, v7
	v_cndmask_b32_e32 v6, v8, v6, vcc
	v_mov_b32_e32 v9, 0x7e00
	v_cmp_ne_u32_e32 vcc, 0, v5
	s_movk_i32 s4, 0x40f
	v_cndmask_b32_e32 v5, v8, v9, vcc
	v_cmp_eq_u32_e32 vcc, s4, v7
	v_cndmask_b32_e32 v5, v6, v5, vcc
	v_lshrrev_b32_e32 v6, 16, v10
	s_mov_b32 s4, 0x8000
	v_and_or_b32 v5, v6, s4, v5
	global_store_short v[2:3], v5, off
.LBB9_925:
	s_mov_b64 s[4:5], 0
.LBB9_926:
	s_andn2_b64 vcc, exec, s[4:5]
	s_cbranch_vccnz .LBB9_942
; %bb.927:
	s_cmp_lt_i32 s8, 2
	s_mov_b64 s[4:5], -1
	s_cbranch_scc1 .LBB9_937
; %bb.928:
	s_cmp_lt_i32 s8, 3
	s_cbranch_scc1 .LBB9_934
; %bb.929:
	s_cmp_gt_i32 s8, 3
	s_cbranch_scc0 .LBB9_931
; %bb.930:
	buffer_load_dword v5, off, s[0:3], 0 offset:32 ; 4-byte Folded Reload
	buffer_load_dword v6, off, s[0:3], 0 offset:36 ; 4-byte Folded Reload
	;; [unrolled: 1-line block ×4, first 2 shown]
	s_movk_i32 s4, 0xffe0
	s_waitcnt vmcnt(2)
	v_trunc_f64_e32 v[5:6], v[5:6]
	s_waitcnt vmcnt(0)
	v_ldexp_f64 v[7:8], v[5:6], s4
	s_mov_b32 s4, 0
	s_mov_b32 s5, 0xc1f00000
	v_floor_f64_e32 v[7:8], v[7:8]
	v_fma_f64 v[5:6], v[7:8], s[4:5], v[5:6]
	v_cvt_i32_f64_e32 v7, v[7:8]
	s_mov_b64 s[4:5], 0
	v_cvt_u32_f64_e32 v6, v[5:6]
	global_store_dwordx2 v[2:3], v[6:7], off
.LBB9_931:
	s_andn2_b64 vcc, exec, s[4:5]
	s_cbranch_vccnz .LBB9_933
; %bb.932:
	buffer_load_dword v5, off, s[0:3], 0 offset:32 ; 4-byte Folded Reload
	buffer_load_dword v6, off, s[0:3], 0 offset:36 ; 4-byte Folded Reload
	;; [unrolled: 1-line block ×4, first 2 shown]
	s_waitcnt vmcnt(2)
	v_cvt_i32_f64_e32 v5, v[5:6]
	global_store_dword v[2:3], v5, off
.LBB9_933:
	s_mov_b64 s[4:5], 0
.LBB9_934:
	s_andn2_b64 vcc, exec, s[4:5]
	s_cbranch_vccnz .LBB9_936
; %bb.935:
	buffer_load_dword v5, off, s[0:3], 0 offset:32 ; 4-byte Folded Reload
	buffer_load_dword v6, off, s[0:3], 0 offset:36 ; 4-byte Folded Reload
	;; [unrolled: 1-line block ×4, first 2 shown]
	s_waitcnt vmcnt(2)
	v_cvt_i32_f64_e32 v5, v[5:6]
	global_store_short v[2:3], v5, off
.LBB9_936:
	s_mov_b64 s[4:5], 0
.LBB9_937:
	s_andn2_b64 vcc, exec, s[4:5]
	s_cbranch_vccnz .LBB9_942
; %bb.938:
	s_cmp_gt_i32 s8, 0
	s_mov_b64 s[4:5], -1
	s_cbranch_scc0 .LBB9_940
; %bb.939:
	buffer_load_dword v5, off, s[0:3], 0 offset:32 ; 4-byte Folded Reload
	buffer_load_dword v6, off, s[0:3], 0 offset:36 ; 4-byte Folded Reload
	;; [unrolled: 1-line block ×4, first 2 shown]
	s_mov_b64 s[4:5], 0
	s_waitcnt vmcnt(2)
	v_cvt_i32_f64_e32 v5, v[5:6]
	global_store_byte v[2:3], v5, off
.LBB9_940:
	s_andn2_b64 vcc, exec, s[4:5]
	s_cbranch_vccnz .LBB9_942
; %bb.941:
	buffer_load_dword v5, off, s[0:3], 0 offset:32 ; 4-byte Folded Reload
	buffer_load_dword v6, off, s[0:3], 0 offset:36 ; 4-byte Folded Reload
	;; [unrolled: 1-line block ×4, first 2 shown]
	s_movk_i32 s4, 0xffe0
	s_waitcnt vmcnt(2)
	v_trunc_f64_e32 v[5:6], v[5:6]
	s_waitcnt vmcnt(0)
	v_ldexp_f64 v[7:8], v[5:6], s4
	s_mov_b32 s4, 0
	s_mov_b32 s5, 0xc1f00000
	v_floor_f64_e32 v[7:8], v[7:8]
	v_fma_f64 v[5:6], v[7:8], s[4:5], v[5:6]
	v_cvt_u32_f64_e32 v5, v[5:6]
	global_store_byte v[2:3], v5, off
.LBB9_942:
	s_branch .LBB9_828
.LBB9_943:
	s_mov_b64 s[4:5], 0
	s_mov_b64 s[8:9], 0
                                        ; implicit-def: $sgpr16
                                        ; implicit-def: $vgpr4_vgpr5
.LBB9_944:
	s_and_b64 s[48:49], s[8:9], exec
	s_andn2_b64 s[8:9], s[52:53], exec
	s_and_b64 s[6:7], s[6:7], exec
	s_and_b64 s[4:5], s[4:5], exec
	s_or_b64 s[52:53], s[8:9], s[6:7]
.LBB9_945:
	s_or_b64 exec, exec, s[50:51]
	s_and_saveexec_b64 s[6:7], s[52:53]
	s_cbranch_execz .LBB9_948
; %bb.946:
	; divergent unreachable
	s_or_b64 exec, exec, s[6:7]
	s_and_saveexec_b64 s[6:7], s[48:49]
	s_xor_b64 s[6:7], exec, s[6:7]
	s_cbranch_execnz .LBB9_949
.LBB9_947:
	s_or_b64 exec, exec, s[6:7]
	s_and_saveexec_b64 s[6:7], s[4:5]
	s_cbranch_execnz .LBB9_950
	s_branch .LBB9_987
.LBB9_948:
	s_or_b64 exec, exec, s[6:7]
	s_and_saveexec_b64 s[6:7], s[48:49]
	s_xor_b64 s[6:7], exec, s[6:7]
	s_cbranch_execz .LBB9_947
.LBB9_949:
	v_cmp_neq_f64_e32 vcc, 0, v[0:1]
	v_cndmask_b32_e64 v2, 0, 1, vcc
	global_store_byte v[4:5], v2, off
	s_or_b64 exec, exec, s[6:7]
	s_and_saveexec_b64 s[6:7], s[4:5]
	s_cbranch_execz .LBB9_987
.LBB9_950:
	s_sext_i32_i16 s6, s16
	s_cmp_lt_i32 s6, 5
	s_mov_b64 s[4:5], -1
	s_cbranch_scc1 .LBB9_971
; %bb.951:
	s_cmp_lt_i32 s6, 8
	s_cbranch_scc1 .LBB9_961
; %bb.952:
	s_cmp_lt_i32 s6, 9
	s_cbranch_scc1 .LBB9_958
; %bb.953:
	s_cmp_gt_i32 s6, 9
	s_cbranch_scc0 .LBB9_955
; %bb.954:
	v_mov_b32_e32 v2, 0
	v_mov_b32_e32 v3, v2
	global_store_dwordx4 v[4:5], v[0:3], off
	s_mov_b64 s[4:5], 0
.LBB9_955:
	s_andn2_b64 vcc, exec, s[4:5]
	s_cbranch_vccnz .LBB9_957
; %bb.956:
	v_cvt_f32_f64_e32 v2, v[0:1]
	v_mov_b32_e32 v3, 0
	global_store_dwordx2 v[4:5], v[2:3], off
.LBB9_957:
	s_mov_b64 s[4:5], 0
.LBB9_958:
	s_andn2_b64 vcc, exec, s[4:5]
	s_cbranch_vccnz .LBB9_960
; %bb.959:
	s_movk_i32 s4, 0x1ff
	v_and_or_b32 v2, v1, s4, v0
	v_cmp_ne_u32_e32 vcc, 0, v2
	v_cndmask_b32_e64 v2, 0, 1, vcc
	v_lshrrev_b32_e32 v3, 8, v1
	s_movk_i32 s4, 0xffe
	v_bfe_u32 v6, v1, 20, 11
	v_and_or_b32 v2, v3, s4, v2
	s_waitcnt vmcnt(1)
	v_sub_u32_e32 v7, 0x3f1, v6
	v_or_b32_e32 v3, 0x1000, v2
	v_med3_i32 v7, v7, 0, 13
	s_waitcnt vmcnt(0)
	v_lshrrev_b32_e32 v8, v7, v3
	v_lshlrev_b32_e32 v7, v7, v8
	v_cmp_ne_u32_e32 vcc, v7, v3
	v_cndmask_b32_e64 v3, 0, 1, vcc
	v_add_u32_e32 v6, 0xfffffc10, v6
	v_or_b32_e32 v3, v8, v3
	v_lshl_or_b32 v7, v6, 12, v2
	v_cmp_gt_i32_e32 vcc, 1, v6
	v_cndmask_b32_e32 v3, v7, v3, vcc
	v_and_b32_e32 v7, 7, v3
	v_cmp_lt_i32_e32 vcc, 5, v7
	v_cndmask_b32_e64 v8, 0, 1, vcc
	v_cmp_eq_u32_e32 vcc, 3, v7
	v_cndmask_b32_e64 v7, 0, 1, vcc
	v_or_b32_e32 v7, v7, v8
	v_lshrrev_b32_e32 v3, 2, v3
	v_add_u32_e32 v3, v3, v7
	v_mov_b32_e32 v7, 0x7c00
	v_cmp_gt_i32_e32 vcc, 31, v6
	v_cndmask_b32_e32 v3, v7, v3, vcc
	v_mov_b32_e32 v8, 0x7e00
	v_cmp_ne_u32_e32 vcc, 0, v2
	s_movk_i32 s4, 0x40f
	v_cndmask_b32_e32 v2, v7, v8, vcc
	v_cmp_eq_u32_e32 vcc, s4, v6
	v_cndmask_b32_e32 v2, v3, v2, vcc
	v_lshrrev_b32_e32 v3, 16, v1
	s_mov_b32 s4, 0x8000
	v_and_or_b32 v2, v3, s4, v2
	v_and_b32_e32 v2, 0xffff, v2
	global_store_dword v[4:5], v2, off
.LBB9_960:
	s_mov_b64 s[4:5], 0
.LBB9_961:
	s_andn2_b64 vcc, exec, s[4:5]
	s_cbranch_vccnz .LBB9_970
; %bb.962:
	s_sext_i32_i16 s6, s16
	s_cmp_lt_i32 s6, 6
	s_mov_b64 s[4:5], -1
	s_cbranch_scc1 .LBB9_968
; %bb.963:
	s_cmp_gt_i32 s6, 6
	s_cbranch_scc0 .LBB9_965
; %bb.964:
	global_store_dwordx2 v[4:5], v[0:1], off
	s_mov_b64 s[4:5], 0
.LBB9_965:
	s_andn2_b64 vcc, exec, s[4:5]
	s_cbranch_vccnz .LBB9_967
; %bb.966:
	v_cvt_f32_f64_e32 v2, v[0:1]
	global_store_dword v[4:5], v2, off
.LBB9_967:
	s_mov_b64 s[4:5], 0
.LBB9_968:
	s_andn2_b64 vcc, exec, s[4:5]
	s_cbranch_vccnz .LBB9_970
; %bb.969:
	s_movk_i32 s4, 0x1ff
	v_and_or_b32 v2, v1, s4, v0
	v_cmp_ne_u32_e32 vcc, 0, v2
	v_cndmask_b32_e64 v2, 0, 1, vcc
	v_lshrrev_b32_e32 v3, 8, v1
	s_movk_i32 s4, 0xffe
	v_bfe_u32 v6, v1, 20, 11
	v_and_or_b32 v2, v3, s4, v2
	s_waitcnt vmcnt(1)
	v_sub_u32_e32 v7, 0x3f1, v6
	v_or_b32_e32 v3, 0x1000, v2
	v_med3_i32 v7, v7, 0, 13
	s_waitcnt vmcnt(0)
	v_lshrrev_b32_e32 v8, v7, v3
	v_lshlrev_b32_e32 v7, v7, v8
	v_cmp_ne_u32_e32 vcc, v7, v3
	v_cndmask_b32_e64 v3, 0, 1, vcc
	v_add_u32_e32 v6, 0xfffffc10, v6
	v_or_b32_e32 v3, v8, v3
	v_lshl_or_b32 v7, v6, 12, v2
	v_cmp_gt_i32_e32 vcc, 1, v6
	v_cndmask_b32_e32 v3, v7, v3, vcc
	v_and_b32_e32 v7, 7, v3
	v_cmp_lt_i32_e32 vcc, 5, v7
	v_cndmask_b32_e64 v8, 0, 1, vcc
	v_cmp_eq_u32_e32 vcc, 3, v7
	v_cndmask_b32_e64 v7, 0, 1, vcc
	v_or_b32_e32 v7, v7, v8
	v_lshrrev_b32_e32 v3, 2, v3
	v_add_u32_e32 v3, v3, v7
	v_mov_b32_e32 v7, 0x7c00
	v_cmp_gt_i32_e32 vcc, 31, v6
	v_cndmask_b32_e32 v3, v7, v3, vcc
	v_mov_b32_e32 v8, 0x7e00
	v_cmp_ne_u32_e32 vcc, 0, v2
	s_movk_i32 s4, 0x40f
	v_cndmask_b32_e32 v2, v7, v8, vcc
	v_cmp_eq_u32_e32 vcc, s4, v6
	v_cndmask_b32_e32 v2, v3, v2, vcc
	v_lshrrev_b32_e32 v3, 16, v1
	s_mov_b32 s4, 0x8000
	v_and_or_b32 v2, v3, s4, v2
	global_store_short v[4:5], v2, off
.LBB9_970:
	s_mov_b64 s[4:5], 0
.LBB9_971:
	s_andn2_b64 vcc, exec, s[4:5]
	s_cbranch_vccnz .LBB9_987
; %bb.972:
	s_sext_i32_i16 s6, s16
	s_cmp_lt_i32 s6, 2
	s_mov_b64 s[4:5], -1
	s_cbranch_scc1 .LBB9_982
; %bb.973:
	s_cmp_lt_i32 s6, 3
	s_cbranch_scc1 .LBB9_979
; %bb.974:
	s_cmp_gt_i32 s6, 3
	s_cbranch_scc0 .LBB9_976
; %bb.975:
	v_trunc_f64_e32 v[2:3], v[0:1]
	s_movk_i32 s4, 0xffe0
	s_waitcnt vmcnt(1)
	v_ldexp_f64 v[6:7], v[2:3], s4
	s_mov_b32 s4, 0
	s_mov_b32 s5, 0xc1f00000
	v_floor_f64_e32 v[6:7], v[6:7]
	v_fma_f64 v[2:3], v[6:7], s[4:5], v[2:3]
	v_cvt_i32_f64_e32 v7, v[6:7]
	s_mov_b64 s[4:5], 0
	v_cvt_u32_f64_e32 v6, v[2:3]
	global_store_dwordx2 v[4:5], v[6:7], off
.LBB9_976:
	s_andn2_b64 vcc, exec, s[4:5]
	s_cbranch_vccnz .LBB9_978
; %bb.977:
	v_cvt_i32_f64_e32 v2, v[0:1]
	global_store_dword v[4:5], v2, off
.LBB9_978:
	s_mov_b64 s[4:5], 0
.LBB9_979:
	s_andn2_b64 vcc, exec, s[4:5]
	s_cbranch_vccnz .LBB9_981
; %bb.980:
	v_cvt_i32_f64_e32 v2, v[0:1]
	global_store_short v[4:5], v2, off
.LBB9_981:
	s_mov_b64 s[4:5], 0
.LBB9_982:
	s_andn2_b64 vcc, exec, s[4:5]
	s_cbranch_vccnz .LBB9_987
; %bb.983:
	s_sext_i32_i16 s4, s16
	s_cmp_gt_i32 s4, 0
	s_mov_b64 s[4:5], -1
	s_cbranch_scc0 .LBB9_985
; %bb.984:
	v_cvt_i32_f64_e32 v2, v[0:1]
	s_mov_b64 s[4:5], 0
	global_store_byte v[4:5], v2, off
.LBB9_985:
	s_andn2_b64 vcc, exec, s[4:5]
	s_cbranch_vccnz .LBB9_987
; %bb.986:
	v_trunc_f64_e32 v[0:1], v[0:1]
	s_movk_i32 s4, 0xffe0
	v_ldexp_f64 v[2:3], v[0:1], s4
	s_mov_b32 s4, 0
	s_mov_b32 s5, 0xc1f00000
	v_floor_f64_e32 v[2:3], v[2:3]
	v_fma_f64 v[0:1], v[2:3], s[4:5], v[0:1]
	v_cvt_u32_f64_e32 v0, v[0:1]
	global_store_byte v[4:5], v0, off
	s_endpgm
.LBB9_987:
	s_endpgm
.LBB9_988:
	s_mov_b64 s[8:9], 0
	s_mov_b64 s[4:5], -1
	s_branch .LBB9_944
.LBB9_989:
	s_andn2_saveexec_b64 s[12:13], s[12:13]
	s_cbranch_execz .LBB9_541
.LBB9_990:
	s_mov_b32 s15, 0x46000000
	v_add_f32_e64 v6, |v5|, s15
	v_and_b32_e32 v6, 0xff, v6
	v_cmp_ne_u32_e32 vcc, 0, v6
	s_andn2_b64 s[10:11], s[10:11], exec
	s_and_b64 s[18:19], vcc, exec
	s_or_b64 s[10:11], s[10:11], s[18:19]
	s_or_b64 exec, exec, s[12:13]
	v_mov_b32_e32 v7, 0
	s_and_saveexec_b64 s[12:13], s[10:11]
	s_cbranch_execnz .LBB9_542
	s_branch .LBB9_543
.LBB9_991:
	s_or_b64 s[6:7], s[52:53], exec
	s_trap 2
	s_cbranch_execz .LBB9_589
	s_branch .LBB9_590
.LBB9_992:
	s_andn2_saveexec_b64 s[10:11], s[10:11]
	s_cbranch_execz .LBB9_554
.LBB9_993:
	s_mov_b32 s12, 0x42800000
	v_add_f32_e64 v6, |v5|, s12
	v_and_b32_e32 v6, 0xff, v6
	v_cmp_ne_u32_e32 vcc, 0, v6
	s_andn2_b64 s[8:9], s[8:9], exec
	s_and_b64 s[12:13], vcc, exec
	s_or_b64 s[8:9], s[8:9], s[12:13]
	s_or_b64 exec, exec, s[10:11]
	v_mov_b32_e32 v7, 0
	s_and_saveexec_b64 s[10:11], s[8:9]
	s_cbranch_execnz .LBB9_555
	s_branch .LBB9_556
.LBB9_994:
	s_andn2_saveexec_b64 s[14:15], s[14:15]
	s_cbranch_execz .LBB9_659
.LBB9_995:
	s_mov_b32 s19, 0x46000000
	v_add_f32_e64 v6, |v5|, s19
	v_and_b32_e32 v6, 0xff, v6
	v_cmp_ne_u32_e32 vcc, 0, v6
	s_andn2_b64 s[12:13], s[12:13], exec
	s_and_b64 s[20:21], vcc, exec
	s_or_b64 s[12:13], s[12:13], s[20:21]
	s_or_b64 exec, exec, s[14:15]
	v_mov_b32_e32 v7, 0
	s_and_saveexec_b64 s[14:15], s[12:13]
	s_cbranch_execnz .LBB9_660
	s_branch .LBB9_661
.LBB9_996:
	s_trap 2
	s_or_b64 s[6:7], s[6:7], exec
	s_cbranch_execz .LBB9_707
	s_branch .LBB9_708
.LBB9_997:
	s_andn2_saveexec_b64 s[12:13], s[12:13]
	s_cbranch_execz .LBB9_672
.LBB9_998:
	s_mov_b32 s14, 0x42800000
	v_add_f32_e64 v6, |v5|, s14
	v_and_b32_e32 v6, 0xff, v6
	v_cmp_ne_u32_e32 vcc, 0, v6
	s_andn2_b64 s[10:11], s[10:11], exec
	s_and_b64 s[14:15], vcc, exec
	s_or_b64 s[10:11], s[10:11], s[14:15]
	s_or_b64 exec, exec, s[12:13]
	v_mov_b32_e32 v7, 0
	s_and_saveexec_b64 s[12:13], s[10:11]
	s_cbranch_execnz .LBB9_673
	s_branch .LBB9_674
.LBB9_999:
	s_andn2_saveexec_b64 s[14:15], s[14:15]
	s_cbranch_execz .LBB9_777
.LBB9_1000:
	s_mov_b32 s19, 0x46000000
	v_add_f32_e64 v6, |v5|, s19
	v_and_b32_e32 v6, 0xff, v6
	v_cmp_ne_u32_e32 vcc, 0, v6
	s_andn2_b64 s[12:13], s[12:13], exec
	s_and_b64 s[20:21], vcc, exec
	s_or_b64 s[12:13], s[12:13], s[20:21]
	s_or_b64 exec, exec, s[14:15]
	v_mov_b32_e32 v7, 0
	s_and_saveexec_b64 s[14:15], s[12:13]
	s_cbranch_execnz .LBB9_778
	s_branch .LBB9_779
.LBB9_1001:
	s_trap 2
	s_or_b64 s[6:7], s[6:7], exec
	s_cbranch_execz .LBB9_825
	s_branch .LBB9_826
.LBB9_1002:
	s_andn2_saveexec_b64 s[12:13], s[12:13]
	s_cbranch_execz .LBB9_790
.LBB9_1003:
	s_mov_b32 s14, 0x42800000
	v_add_f32_e64 v6, |v5|, s14
	v_and_b32_e32 v6, 0xff, v6
	v_cmp_ne_u32_e32 vcc, 0, v6
	s_andn2_b64 s[10:11], s[10:11], exec
	s_and_b64 s[14:15], vcc, exec
	s_or_b64 s[10:11], s[10:11], s[14:15]
	s_or_b64 exec, exec, s[12:13]
	v_mov_b32_e32 v7, 0
	s_and_saveexec_b64 s[12:13], s[10:11]
	s_cbranch_execnz .LBB9_791
	s_branch .LBB9_792
.LBB9_1004:
	s_andn2_saveexec_b64 s[14:15], s[14:15]
	s_cbranch_execz .LBB9_857
.LBB9_1005:
	s_mov_b32 s18, 0x46000000
	v_add_f32_e64 v3, |v2|, s18
	v_and_b32_e32 v3, 0xff, v3
	v_cmp_ne_u32_e32 vcc, 0, v3
	s_andn2_b64 s[12:13], s[12:13], exec
	s_and_b64 s[18:19], vcc, exec
	s_or_b64 s[12:13], s[12:13], s[18:19]
	s_or_b64 exec, exec, s[14:15]
	v_mov_b32_e32 v6, 0
	s_and_saveexec_b64 s[14:15], s[12:13]
	s_cbranch_execnz .LBB9_858
	s_branch .LBB9_859
.LBB9_1006:
	s_mov_b64 s[8:9], 0
	s_or_b64 s[6:7], s[6:7], exec
	s_trap 2
	s_branch .LBB9_903
.LBB9_1007:
	s_andn2_saveexec_b64 s[10:11], s[10:11]
	s_cbranch_execz .LBB9_422
.LBB9_1008:
	s_mov_b32 s12, 0x46000000
	v_add_f32_e64 v3, |v2|, s12
	v_and_b32_e32 v3, 0xff, v3
	v_cmp_ne_u32_e32 vcc, 0, v3
	s_andn2_b64 s[8:9], s[8:9], exec
	s_and_b64 s[12:13], vcc, exec
	s_or_b64 s[8:9], s[8:9], s[12:13]
	s_or_b64 exec, exec, s[10:11]
	v_mov_b32_e32 v6, 0
	s_and_saveexec_b64 s[10:11], s[8:9]
	s_cbranch_execnz .LBB9_423
	s_branch .LBB9_424
.LBB9_1009:
	s_andn2_saveexec_b64 s[12:13], s[12:13]
	s_cbranch_execz .LBB9_869
.LBB9_1010:
	s_mov_b32 s14, 0x42800000
	v_add_f32_e64 v3, |v2|, s14
	v_and_b32_e32 v3, 0xff, v3
	v_cmp_ne_u32_e32 vcc, 0, v3
	s_andn2_b64 s[10:11], s[10:11], exec
	s_and_b64 s[14:15], vcc, exec
	s_or_b64 s[10:11], s[10:11], s[14:15]
	s_or_b64 exec, exec, s[12:13]
	v_mov_b32_e32 v6, 0
	s_and_saveexec_b64 s[12:13], s[10:11]
	s_cbranch_execnz .LBB9_870
	s_branch .LBB9_871
.LBB9_1011:
	s_andn2_saveexec_b64 s[12:13], s[12:13]
	s_cbranch_execz .LBB9_434
.LBB9_1012:
	s_mov_b32 s16, 0x42800000
	v_add_f32_e64 v3, |v2|, s16
	v_and_b32_e32 v3, 0xff, v3
	v_cmp_ne_u32_e32 vcc, 0, v3
	s_andn2_b64 s[10:11], s[10:11], exec
	s_and_b64 s[16:17], vcc, exec
	s_or_b64 s[10:11], s[10:11], s[16:17]
	s_or_b64 exec, exec, s[12:13]
	v_mov_b32_e32 v6, 0
	s_and_saveexec_b64 s[12:13], s[10:11]
	s_cbranch_execnz .LBB9_435
	s_branch .LBB9_436
	.section	.rodata,"a",@progbits
	.p2align	6, 0x0
	.amdhsa_kernel _ZN2at6native32elementwise_kernel_manual_unrollILi128ELi4EZNS0_15gpu_kernel_implIZZZNS0_12_GLOBAL__N_121bessel_y0_kernel_cudaERNS_18TensorIteratorBaseEENKUlvE_clEvENKUlvE_clEvEUldE_EEvS5_RKT_EUlibE_EEviT1_
		.amdhsa_group_segment_fixed_size 0
		.amdhsa_private_segment_fixed_size 124
		.amdhsa_kernarg_size 40
		.amdhsa_user_sgpr_count 6
		.amdhsa_user_sgpr_private_segment_buffer 1
		.amdhsa_user_sgpr_dispatch_ptr 0
		.amdhsa_user_sgpr_queue_ptr 0
		.amdhsa_user_sgpr_kernarg_segment_ptr 1
		.amdhsa_user_sgpr_dispatch_id 0
		.amdhsa_user_sgpr_flat_scratch_init 0
		.amdhsa_user_sgpr_private_segment_size 0
		.amdhsa_uses_dynamic_stack 0
		.amdhsa_system_sgpr_private_segment_wavefront_offset 1
		.amdhsa_system_sgpr_workgroup_id_x 1
		.amdhsa_system_sgpr_workgroup_id_y 0
		.amdhsa_system_sgpr_workgroup_id_z 0
		.amdhsa_system_sgpr_workgroup_info 0
		.amdhsa_system_vgpr_workitem_id 0
		.amdhsa_next_free_vgpr 62
		.amdhsa_next_free_sgpr 68
		.amdhsa_reserve_vcc 1
		.amdhsa_reserve_flat_scratch 0
		.amdhsa_float_round_mode_32 0
		.amdhsa_float_round_mode_16_64 0
		.amdhsa_float_denorm_mode_32 3
		.amdhsa_float_denorm_mode_16_64 3
		.amdhsa_dx10_clamp 1
		.amdhsa_ieee_mode 1
		.amdhsa_fp16_overflow 0
		.amdhsa_exception_fp_ieee_invalid_op 0
		.amdhsa_exception_fp_denorm_src 0
		.amdhsa_exception_fp_ieee_div_zero 0
		.amdhsa_exception_fp_ieee_overflow 0
		.amdhsa_exception_fp_ieee_underflow 0
		.amdhsa_exception_fp_ieee_inexact 0
		.amdhsa_exception_int_div_zero 0
	.end_amdhsa_kernel
	.section	.text._ZN2at6native32elementwise_kernel_manual_unrollILi128ELi4EZNS0_15gpu_kernel_implIZZZNS0_12_GLOBAL__N_121bessel_y0_kernel_cudaERNS_18TensorIteratorBaseEENKUlvE_clEvENKUlvE_clEvEUldE_EEvS5_RKT_EUlibE_EEviT1_,"axG",@progbits,_ZN2at6native32elementwise_kernel_manual_unrollILi128ELi4EZNS0_15gpu_kernel_implIZZZNS0_12_GLOBAL__N_121bessel_y0_kernel_cudaERNS_18TensorIteratorBaseEENKUlvE_clEvENKUlvE_clEvEUldE_EEvS5_RKT_EUlibE_EEviT1_,comdat
.Lfunc_end9:
	.size	_ZN2at6native32elementwise_kernel_manual_unrollILi128ELi4EZNS0_15gpu_kernel_implIZZZNS0_12_GLOBAL__N_121bessel_y0_kernel_cudaERNS_18TensorIteratorBaseEENKUlvE_clEvENKUlvE_clEvEUldE_EEvS5_RKT_EUlibE_EEviT1_, .Lfunc_end9-_ZN2at6native32elementwise_kernel_manual_unrollILi128ELi4EZNS0_15gpu_kernel_implIZZZNS0_12_GLOBAL__N_121bessel_y0_kernel_cudaERNS_18TensorIteratorBaseEENKUlvE_clEvENKUlvE_clEvEUldE_EEvS5_RKT_EUlibE_EEviT1_
                                        ; -- End function
	.set _ZN2at6native32elementwise_kernel_manual_unrollILi128ELi4EZNS0_15gpu_kernel_implIZZZNS0_12_GLOBAL__N_121bessel_y0_kernel_cudaERNS_18TensorIteratorBaseEENKUlvE_clEvENKUlvE_clEvEUldE_EEvS5_RKT_EUlibE_EEviT1_.num_vgpr, max(45, .L_ZN2at6native6invokeIZZZNS0_12_GLOBAL__N_121bessel_y0_kernel_cudaERNS_18TensorIteratorBaseEENKUlvE_clEvENKUlvE_clEvEUldE_i15function_traitsIS7_EEENT1_11result_typeERKT_PrKPcPKT0_PKN3c1010ScalarTypeEi.num_vgpr)
	.set _ZN2at6native32elementwise_kernel_manual_unrollILi128ELi4EZNS0_15gpu_kernel_implIZZZNS0_12_GLOBAL__N_121bessel_y0_kernel_cudaERNS_18TensorIteratorBaseEENKUlvE_clEvENKUlvE_clEvEUldE_EEvS5_RKT_EUlibE_EEviT1_.num_agpr, max(0, .L_ZN2at6native6invokeIZZZNS0_12_GLOBAL__N_121bessel_y0_kernel_cudaERNS_18TensorIteratorBaseEENKUlvE_clEvENKUlvE_clEvEUldE_i15function_traitsIS7_EEENT1_11result_typeERKT_PrKPcPKT0_PKN3c1010ScalarTypeEi.num_agpr)
	.set _ZN2at6native32elementwise_kernel_manual_unrollILi128ELi4EZNS0_15gpu_kernel_implIZZZNS0_12_GLOBAL__N_121bessel_y0_kernel_cudaERNS_18TensorIteratorBaseEENKUlvE_clEvENKUlvE_clEvEUldE_EEvS5_RKT_EUlibE_EEviT1_.numbered_sgpr, max(68, .L_ZN2at6native6invokeIZZZNS0_12_GLOBAL__N_121bessel_y0_kernel_cudaERNS_18TensorIteratorBaseEENKUlvE_clEvENKUlvE_clEvEUldE_i15function_traitsIS7_EEENT1_11result_typeERKT_PrKPcPKT0_PKN3c1010ScalarTypeEi.numbered_sgpr)
	.set _ZN2at6native32elementwise_kernel_manual_unrollILi128ELi4EZNS0_15gpu_kernel_implIZZZNS0_12_GLOBAL__N_121bessel_y0_kernel_cudaERNS_18TensorIteratorBaseEENKUlvE_clEvENKUlvE_clEvEUldE_EEvS5_RKT_EUlibE_EEviT1_.num_named_barrier, max(0, .L_ZN2at6native6invokeIZZZNS0_12_GLOBAL__N_121bessel_y0_kernel_cudaERNS_18TensorIteratorBaseEENKUlvE_clEvENKUlvE_clEvEUldE_i15function_traitsIS7_EEENT1_11result_typeERKT_PrKPcPKT0_PKN3c1010ScalarTypeEi.num_named_barrier)
	.set _ZN2at6native32elementwise_kernel_manual_unrollILi128ELi4EZNS0_15gpu_kernel_implIZZZNS0_12_GLOBAL__N_121bessel_y0_kernel_cudaERNS_18TensorIteratorBaseEENKUlvE_clEvENKUlvE_clEvEUldE_EEvS5_RKT_EUlibE_EEviT1_.private_seg_size, 64+max(.L_ZN2at6native6invokeIZZZNS0_12_GLOBAL__N_121bessel_y0_kernel_cudaERNS_18TensorIteratorBaseEENKUlvE_clEvENKUlvE_clEvEUldE_i15function_traitsIS7_EEENT1_11result_typeERKT_PrKPcPKT0_PKN3c1010ScalarTypeEi.private_seg_size)
	.set _ZN2at6native32elementwise_kernel_manual_unrollILi128ELi4EZNS0_15gpu_kernel_implIZZZNS0_12_GLOBAL__N_121bessel_y0_kernel_cudaERNS_18TensorIteratorBaseEENKUlvE_clEvENKUlvE_clEvEUldE_EEvS5_RKT_EUlibE_EEviT1_.uses_vcc, or(1, .L_ZN2at6native6invokeIZZZNS0_12_GLOBAL__N_121bessel_y0_kernel_cudaERNS_18TensorIteratorBaseEENKUlvE_clEvENKUlvE_clEvEUldE_i15function_traitsIS7_EEENT1_11result_typeERKT_PrKPcPKT0_PKN3c1010ScalarTypeEi.uses_vcc)
	.set _ZN2at6native32elementwise_kernel_manual_unrollILi128ELi4EZNS0_15gpu_kernel_implIZZZNS0_12_GLOBAL__N_121bessel_y0_kernel_cudaERNS_18TensorIteratorBaseEENKUlvE_clEvENKUlvE_clEvEUldE_EEvS5_RKT_EUlibE_EEviT1_.uses_flat_scratch, or(0, .L_ZN2at6native6invokeIZZZNS0_12_GLOBAL__N_121bessel_y0_kernel_cudaERNS_18TensorIteratorBaseEENKUlvE_clEvENKUlvE_clEvEUldE_i15function_traitsIS7_EEENT1_11result_typeERKT_PrKPcPKT0_PKN3c1010ScalarTypeEi.uses_flat_scratch)
	.set _ZN2at6native32elementwise_kernel_manual_unrollILi128ELi4EZNS0_15gpu_kernel_implIZZZNS0_12_GLOBAL__N_121bessel_y0_kernel_cudaERNS_18TensorIteratorBaseEENKUlvE_clEvENKUlvE_clEvEUldE_EEvS5_RKT_EUlibE_EEviT1_.has_dyn_sized_stack, or(0, .L_ZN2at6native6invokeIZZZNS0_12_GLOBAL__N_121bessel_y0_kernel_cudaERNS_18TensorIteratorBaseEENKUlvE_clEvENKUlvE_clEvEUldE_i15function_traitsIS7_EEENT1_11result_typeERKT_PrKPcPKT0_PKN3c1010ScalarTypeEi.has_dyn_sized_stack)
	.set _ZN2at6native32elementwise_kernel_manual_unrollILi128ELi4EZNS0_15gpu_kernel_implIZZZNS0_12_GLOBAL__N_121bessel_y0_kernel_cudaERNS_18TensorIteratorBaseEENKUlvE_clEvENKUlvE_clEvEUldE_EEvS5_RKT_EUlibE_EEviT1_.has_recursion, or(0, .L_ZN2at6native6invokeIZZZNS0_12_GLOBAL__N_121bessel_y0_kernel_cudaERNS_18TensorIteratorBaseEENKUlvE_clEvENKUlvE_clEvEUldE_i15function_traitsIS7_EEENT1_11result_typeERKT_PrKPcPKT0_PKN3c1010ScalarTypeEi.has_recursion)
	.set _ZN2at6native32elementwise_kernel_manual_unrollILi128ELi4EZNS0_15gpu_kernel_implIZZZNS0_12_GLOBAL__N_121bessel_y0_kernel_cudaERNS_18TensorIteratorBaseEENKUlvE_clEvENKUlvE_clEvEUldE_EEvS5_RKT_EUlibE_EEviT1_.has_indirect_call, or(0, .L_ZN2at6native6invokeIZZZNS0_12_GLOBAL__N_121bessel_y0_kernel_cudaERNS_18TensorIteratorBaseEENKUlvE_clEvENKUlvE_clEvEUldE_i15function_traitsIS7_EEENT1_11result_typeERKT_PrKPcPKT0_PKN3c1010ScalarTypeEi.has_indirect_call)
	.section	.AMDGPU.csdata,"",@progbits
; Kernel info:
; codeLenInByte = 22680
; TotalNumSgprs: 72
; NumVgprs: 62
; ScratchSize: 124
; MemoryBound: 0
; FloatMode: 240
; IeeeMode: 1
; LDSByteSize: 0 bytes/workgroup (compile time only)
; SGPRBlocks: 8
; VGPRBlocks: 15
; NumSGPRsForWavesPerEU: 72
; NumVGPRsForWavesPerEU: 62
; Occupancy: 4
; WaveLimiterHint : 0
; COMPUTE_PGM_RSRC2:SCRATCH_EN: 1
; COMPUTE_PGM_RSRC2:USER_SGPR: 6
; COMPUTE_PGM_RSRC2:TRAP_HANDLER: 0
; COMPUTE_PGM_RSRC2:TGID_X_EN: 1
; COMPUTE_PGM_RSRC2:TGID_Y_EN: 0
; COMPUTE_PGM_RSRC2:TGID_Z_EN: 0
; COMPUTE_PGM_RSRC2:TIDIG_COMP_CNT: 0
	.text
	.p2align	2                               ; -- Begin function _ZN2at6native6invokeIZZZNS0_12_GLOBAL__N_121bessel_y0_kernel_cudaERNS_18TensorIteratorBaseEENKUlvE_clEvENKUlvE_clEvEUldE_j15function_traitsIS7_EEENT1_11result_typeERKT_PrKPcPKT0_PKN3c1010ScalarTypeEi
	.type	_ZN2at6native6invokeIZZZNS0_12_GLOBAL__N_121bessel_y0_kernel_cudaERNS_18TensorIteratorBaseEENKUlvE_clEvENKUlvE_clEvEUldE_j15function_traitsIS7_EEENT1_11result_typeERKT_PrKPcPKT0_PKN3c1010ScalarTypeEi,@function
_ZN2at6native6invokeIZZZNS0_12_GLOBAL__N_121bessel_y0_kernel_cudaERNS_18TensorIteratorBaseEENKUlvE_clEvENKUlvE_clEvEUldE_j15function_traitsIS7_EEENT1_11result_typeERKT_PrKPcPKT0_PKN3c1010ScalarTypeEi: ; @_ZN2at6native6invokeIZZZNS0_12_GLOBAL__N_121bessel_y0_kernel_cudaERNS_18TensorIteratorBaseEENKUlvE_clEvENKUlvE_clEvEUldE_j15function_traitsIS7_EEENT1_11result_typeERKT_PrKPcPKT0_PKN3c1010ScalarTypeEi
; %bb.0:
	s_waitcnt vmcnt(0) expcnt(0) lgkmcnt(0)
	buffer_store_dword v40, off, s[0:3], s32 offset:52 ; 4-byte Folded Spill
	buffer_store_dword v41, off, s[0:3], s32 offset:48 ; 4-byte Folded Spill
	;; [unrolled: 1-line block ×13, first 2 shown]
	buffer_store_dword v61, off, s[0:3], s32 ; 4-byte Folded Spill
	v_add_co_u32_e32 v0, vcc, v0, v2
	v_mov_b32_e32 v2, 10
	v_addc_co_u32_e32 v1, vcc, 0, v1, vcc
	v_cmp_gt_i16_sdwa s[4:5], v3, v2 src0_sel:BYTE_0 src1_sel:DWORD
	s_mov_b64 s[6:7], 0
                                        ; implicit-def: $vgpr4_vgpr5
	s_and_saveexec_b64 s[8:9], s[4:5]
	s_xor_b64 s[4:5], exec, s[8:9]
	s_cbranch_execz .LBB10_42
; %bb.1:
	v_mov_b32_e32 v2, 25
	v_cmp_gt_i16_sdwa s[10:11], v3, v2 src0_sel:BYTE_0 src1_sel:DWORD
	s_mov_b64 s[12:13], 0
	s_mov_b64 s[8:9], 0
                                        ; implicit-def: $vgpr4_vgpr5
	s_and_saveexec_b64 s[14:15], s[10:11]
	s_xor_b64 s[10:11], exec, s[14:15]
	s_cbranch_execz .LBB10_97
; %bb.2:
	v_mov_b32_e32 v2, 28
	v_cmp_gt_i16_sdwa s[8:9], v3, v2 src0_sel:BYTE_0 src1_sel:DWORD
	s_mov_b64 s[14:15], 0
                                        ; implicit-def: $vgpr4_vgpr5
	s_and_saveexec_b64 s[16:17], s[8:9]
	s_xor_b64 s[8:9], exec, s[16:17]
	s_cbranch_execz .LBB10_18
; %bb.3:
	v_mov_b32_e32 v2, 43
	v_cmp_gt_i16_sdwa s[12:13], v3, v2 src0_sel:BYTE_0 src1_sel:DWORD
	s_mov_b64 s[16:17], 0
	s_mov_b64 s[18:19], 0
                                        ; implicit-def: $vgpr4_vgpr5
	s_and_saveexec_b64 s[14:15], s[12:13]
	s_xor_b64 s[12:13], exec, s[14:15]
	s_cbranch_execz .LBB10_13
; %bb.4:
	v_mov_b32_e32 v2, 45
	v_cmp_gt_i16_sdwa s[18:19], v3, v2 src0_sel:BYTE_0 src1_sel:DWORD
	s_mov_b64 s[14:15], 0
                                        ; implicit-def: $vgpr4_vgpr5
	s_and_saveexec_b64 s[20:21], s[18:19]
	s_xor_b64 s[18:19], exec, s[20:21]
	s_cbranch_execz .LBB10_8
; %bb.5:
	v_mov_b32_e32 v2, 46
	v_cmp_eq_u16_sdwa s[22:23], v3, v2 src0_sel:BYTE_0 src1_sel:DWORD
	s_mov_b64 s[20:21], -1
                                        ; implicit-def: $vgpr4_vgpr5
	s_and_saveexec_b64 s[16:17], s[22:23]
	s_cbranch_execz .LBB10_7
; %bb.6:
	flat_load_dword v2, v[0:1]
	s_mov_b64 s[14:15], exec
	s_xor_b64 s[20:21], exec, -1
	s_waitcnt vmcnt(0) lgkmcnt(0)
	v_lshlrev_b32_e32 v2, 16, v2
	v_cvt_f64_f32_e32 v[4:5], v2
.LBB10_7:
	s_or_b64 exec, exec, s[16:17]
	s_and_b64 s[16:17], s[14:15], exec
	s_and_b64 s[14:15], s[20:21], exec
                                        ; implicit-def: $vgpr3
.LBB10_8:
	s_andn2_saveexec_b64 s[18:19], s[18:19]
	s_cbranch_execz .LBB10_12
; %bb.9:
	v_mov_b32_e32 v2, 44
	v_cmp_eq_u16_sdwa s[26:27], v3, v2 src0_sel:BYTE_0 src1_sel:DWORD
	s_mov_b64 s[24:25], -1
	s_mov_b64 s[22:23], s[16:17]
                                        ; implicit-def: $vgpr4_vgpr5
	s_and_saveexec_b64 s[20:21], s[26:27]
	s_cbranch_execz .LBB10_11
; %bb.10:
	flat_load_ubyte v4, v[0:1]
	s_movk_i32 s24, 0xff
	v_bfrev_b32_e32 v5, 4
	v_mov_b32_e32 v6, 0x7ff80000
	v_bfrev_b32_e32 v7, 28
	s_or_b64 s[22:23], s[16:17], exec
	s_waitcnt vmcnt(0) lgkmcnt(0)
	v_lshlrev_b32_e32 v2, 23, v4
	v_cvt_f64_f32_e32 v[2:3], v2
	v_cmp_ne_u32_e32 vcc, s24, v4
	s_xor_b64 s[24:25], exec, -1
	v_cndmask_b32_e32 v2, v5, v2, vcc
	v_cndmask_b32_e32 v3, v6, v3, vcc
	v_cmp_ne_u32_e32 vcc, 0, v4
	v_cndmask_b32_e32 v5, v7, v3, vcc
	v_cndmask_b32_e32 v4, 0, v2, vcc
.LBB10_11:
	s_or_b64 exec, exec, s[20:21]
	s_andn2_b64 s[16:17], s[16:17], exec
	s_and_b64 s[20:21], s[22:23], exec
	s_or_b64 s[16:17], s[16:17], s[20:21]
	s_andn2_b64 s[14:15], s[14:15], exec
	s_and_b64 s[20:21], s[24:25], exec
	s_or_b64 s[14:15], s[14:15], s[20:21]
.LBB10_12:
	s_or_b64 exec, exec, s[18:19]
	s_and_b64 s[18:19], s[16:17], exec
	s_and_b64 s[16:17], s[14:15], exec
                                        ; implicit-def: $vgpr3
.LBB10_13:
	s_andn2_saveexec_b64 s[12:13], s[12:13]
	s_cbranch_execz .LBB10_17
; %bb.14:
	v_mov_b32_e32 v2, 29
	v_cmp_eq_u16_sdwa s[24:25], v3, v2 src0_sel:BYTE_0 src1_sel:DWORD
	s_mov_b64 s[14:15], -1
	s_mov_b64 s[20:21], s[18:19]
                                        ; implicit-def: $vgpr4_vgpr5
	s_and_saveexec_b64 s[22:23], s[24:25]
	s_cbranch_execz .LBB10_16
; %bb.15:
	flat_load_dwordx2 v[2:3], v[0:1]
	s_or_b64 s[20:21], s[18:19], exec
	s_xor_b64 s[14:15], exec, -1
	s_waitcnt vmcnt(0) lgkmcnt(0)
	v_cvt_f64_u32_e32 v[3:4], v3
	v_cvt_f64_u32_e32 v[5:6], v2
	v_ldexp_f64 v[3:4], v[3:4], 32
	v_add_f64 v[4:5], v[3:4], v[5:6]
.LBB10_16:
	s_or_b64 exec, exec, s[22:23]
	s_andn2_b64 s[18:19], s[18:19], exec
	s_and_b64 s[20:21], s[20:21], exec
	s_andn2_b64 s[16:17], s[16:17], exec
	s_and_b64 s[14:15], s[14:15], exec
	s_or_b64 s[18:19], s[18:19], s[20:21]
	s_or_b64 s[16:17], s[16:17], s[14:15]
.LBB10_17:
	s_or_b64 exec, exec, s[12:13]
	s_and_b64 s[14:15], s[18:19], exec
	s_and_b64 s[12:13], s[16:17], exec
                                        ; implicit-def: $vgpr3
.LBB10_18:
	s_andn2_saveexec_b64 s[8:9], s[8:9]
	s_cbranch_execz .LBB10_36
; %bb.19:
	v_mov_b32_e32 v2, 26
	v_cmp_gt_i16_sdwa s[16:17], v3, v2 src0_sel:BYTE_0 src1_sel:DWORD
                                        ; implicit-def: $vgpr4_vgpr5
	s_and_saveexec_b64 s[18:19], s[16:17]
	s_xor_b64 s[16:17], exec, s[18:19]
	s_cbranch_execz .LBB10_25
; %bb.20:
	v_mov_b32_e32 v2, 27
	v_cmp_gt_i16_sdwa s[18:19], v3, v2 src0_sel:BYTE_0 src1_sel:DWORD
                                        ; implicit-def: $vgpr4_vgpr5
	s_and_saveexec_b64 s[20:21], s[18:19]
	s_xor_b64 s[18:19], exec, s[20:21]
	s_cbranch_execz .LBB10_22
; %bb.21:
	flat_load_dword v2, v[0:1]
	s_waitcnt vmcnt(0) lgkmcnt(0)
	v_cvt_f64_u32_e32 v[4:5], v2
.LBB10_22:
	s_andn2_saveexec_b64 s[18:19], s[18:19]
	s_cbranch_execz .LBB10_24
; %bb.23:
	flat_load_ushort v2, v[0:1]
	s_waitcnt vmcnt(0) lgkmcnt(0)
	v_cvt_f64_u32_e32 v[4:5], v2
.LBB10_24:
	s_or_b64 exec, exec, s[18:19]
.LBB10_25:
	s_andn2_saveexec_b64 s[16:17], s[16:17]
	s_cbranch_execz .LBB10_35
; %bb.26:
	flat_load_ubyte v2, v[0:1]
	s_movk_i32 s18, 0x7f
	s_waitcnt vmcnt(0) lgkmcnt(0)
	v_cmp_lt_i16_e32 vcc, s18, v2
	s_mov_b64 s[18:19], 0
	s_and_saveexec_b64 s[20:21], vcc
	s_xor_b64 s[20:21], exec, s[20:21]
	s_cbranch_execz .LBB10_30
; %bb.27:
	s_movk_i32 s18, 0x80
	v_cmp_eq_u16_e32 vcc, s18, v2
	s_mov_b64 s[18:19], -1
	s_and_saveexec_b64 s[22:23], vcc
; %bb.28:
	s_xor_b64 s[18:19], exec, -1
; %bb.29:
	s_or_b64 exec, exec, s[22:23]
	s_and_b64 s[18:19], s[18:19], exec
.LBB10_30:
	s_or_saveexec_b64 s[20:21], s[20:21]
	v_bfrev_b32_e32 v4, 4
	v_mov_b32_e32 v5, 0x7ff80000
	s_xor_b64 exec, exec, s[20:21]
; %bb.31:
	v_cmp_ne_u16_e32 vcc, 0, v2
	v_mov_b32_e32 v4, 0
	s_andn2_b64 s[18:19], s[18:19], exec
	s_and_b64 s[22:23], vcc, exec
	v_mov_b32_e32 v5, 0
	s_or_b64 s[18:19], s[18:19], s[22:23]
; %bb.32:
	s_or_b64 exec, exec, s[20:21]
	s_and_saveexec_b64 s[20:21], s[18:19]
	s_cbranch_execz .LBB10_34
; %bb.33:
	v_lshlrev_b32_e32 v3, 24, v2
	v_and_b32_e32 v2, 0xffff, v2
	v_and_b32_e32 v4, 7, v2
	v_ffbh_u32_e32 v6, v4
	v_min_u32_e32 v6, 32, v6
	v_subrev_u32_e32 v7, 28, v6
	v_bfe_u32 v5, v2, 3, 4
	v_lshlrev_b32_e32 v2, v7, v2
	v_sub_u32_e32 v6, 29, v6
	v_and_b32_e32 v2, 7, v2
	v_cmp_eq_u32_e32 vcc, 0, v5
	v_cndmask_b32_e32 v5, v5, v6, vcc
	v_cndmask_b32_e32 v2, v4, v2, vcc
	v_mov_b32_e32 v4, 0x3b800000
	v_lshlrev_b32_e32 v2, 20, v2
	v_and_b32_e32 v3, 0x80000000, v3
	v_lshl_add_u32 v4, v5, 23, v4
	v_or3_b32 v2, v3, v4, v2
	v_cvt_f64_f32_e32 v[4:5], v2
.LBB10_34:
	s_or_b64 exec, exec, s[20:21]
.LBB10_35:
	s_or_b64 exec, exec, s[16:17]
	s_or_b64 s[14:15], s[14:15], exec
.LBB10_36:
	s_or_b64 exec, exec, s[8:9]
	s_and_b64 s[8:9], s[14:15], exec
	s_and_b64 s[12:13], s[12:13], exec
                                        ; implicit-def: $vgpr3
	s_andn2_saveexec_b64 s[10:11], s[10:11]
	s_cbranch_execnz .LBB10_98
.LBB10_37:
	s_or_b64 exec, exec, s[10:11]
	s_and_saveexec_b64 s[10:11], s[12:13]
	s_cbranch_execnz .LBB10_125
.LBB10_38:
	s_or_b64 exec, exec, s[10:11]
	s_and_saveexec_b64 s[10:11], s[6:7]
	s_xor_b64 s[6:7], exec, s[10:11]
	s_cbranch_execz .LBB10_40
.LBB10_39:
	flat_load_ubyte v0, v[0:1]
	v_mov_b32_e32 v1, 0x3ff00000
	v_mov_b32_e32 v4, 0
	s_or_b64 s[8:9], s[8:9], exec
	s_waitcnt vmcnt(0) lgkmcnt(0)
	v_cmp_ne_u16_e32 vcc, 0, v0
	v_cndmask_b32_e32 v5, 0, v1, vcc
.LBB10_40:
	s_or_b64 exec, exec, s[6:7]
	s_and_b64 s[6:7], s[8:9], exec
                                        ; implicit-def: $vgpr3
                                        ; implicit-def: $vgpr0_vgpr1
	s_andn2_saveexec_b64 s[4:5], s[4:5]
	s_cbranch_execnz .LBB10_43
.LBB10_41:
	s_or_b64 exec, exec, s[4:5]
                                        ; implicit-def: $vgpr0_vgpr1
	s_and_saveexec_b64 s[10:11], s[6:7]
	s_cbranch_execnz .LBB10_84
	s_branch .LBB10_134
.LBB10_42:
	s_andn2_saveexec_b64 s[4:5], s[4:5]
	s_cbranch_execz .LBB10_41
.LBB10_43:
	v_mov_b32_e32 v2, 4
	v_cmp_gt_i16_sdwa s[8:9], v3, v2 src0_sel:BYTE_0 src1_sel:DWORD
                                        ; implicit-def: $vgpr4_vgpr5
	s_and_saveexec_b64 s[10:11], s[8:9]
	s_xor_b64 s[8:9], exec, s[10:11]
	s_cbranch_execz .LBB10_65
; %bb.44:
	v_mov_b32_e32 v2, 7
	v_cmp_gt_i16_sdwa s[10:11], v3, v2 src0_sel:BYTE_0 src1_sel:DWORD
                                        ; implicit-def: $vgpr4_vgpr5
	s_and_saveexec_b64 s[12:13], s[10:11]
	s_xor_b64 s[10:11], exec, s[12:13]
	s_cbranch_execz .LBB10_54
; %bb.45:
	v_mov_b32_e32 v2, 8
	v_cmp_gt_i16_sdwa s[12:13], v3, v2 src0_sel:BYTE_0 src1_sel:DWORD
                                        ; implicit-def: $vgpr4_vgpr5
	s_and_saveexec_b64 s[14:15], s[12:13]
	s_xor_b64 s[12:13], exec, s[14:15]
	s_cbranch_execz .LBB10_51
; %bb.46:
	v_mov_b32_e32 v2, 9
	v_cmp_gt_i16_sdwa s[14:15], v3, v2 src0_sel:BYTE_0 src1_sel:DWORD
                                        ; implicit-def: $vgpr4_vgpr5
	s_and_saveexec_b64 s[16:17], s[14:15]
	s_xor_b64 s[14:15], exec, s[16:17]
	s_cbranch_execz .LBB10_48
; %bb.47:
	flat_load_dwordx2 v[4:5], v[0:1]
                                        ; implicit-def: $vgpr0_vgpr1
.LBB10_48:
	s_andn2_saveexec_b64 s[14:15], s[14:15]
	s_cbranch_execz .LBB10_50
; %bb.49:
	flat_load_dword v0, v[0:1]
	s_waitcnt vmcnt(0) lgkmcnt(0)
	v_cvt_f64_f32_e32 v[4:5], v0
.LBB10_50:
	s_or_b64 exec, exec, s[14:15]
                                        ; implicit-def: $vgpr0_vgpr1
.LBB10_51:
	s_andn2_saveexec_b64 s[12:13], s[12:13]
	s_cbranch_execz .LBB10_53
; %bb.52:
	flat_load_dword v0, v[0:1]
	s_waitcnt vmcnt(0) lgkmcnt(0)
	v_cvt_f32_f16_e32 v0, v0
	v_cvt_f64_f32_e32 v[4:5], v0
.LBB10_53:
	s_or_b64 exec, exec, s[12:13]
                                        ; implicit-def: $vgpr0_vgpr1
                                        ; implicit-def: $vgpr3
.LBB10_54:
	s_andn2_saveexec_b64 s[10:11], s[10:11]
	s_cbranch_execz .LBB10_64
; %bb.55:
	v_mov_b32_e32 v2, 5
	v_cmp_gt_i16_sdwa s[12:13], v3, v2 src0_sel:BYTE_0 src1_sel:DWORD
                                        ; implicit-def: $vgpr4_vgpr5
	s_and_saveexec_b64 s[14:15], s[12:13]
	s_xor_b64 s[12:13], exec, s[14:15]
	s_cbranch_execz .LBB10_61
; %bb.56:
	v_mov_b32_e32 v2, 6
	v_cmp_gt_i16_sdwa s[14:15], v3, v2 src0_sel:BYTE_0 src1_sel:DWORD
                                        ; implicit-def: $vgpr4_vgpr5
	s_and_saveexec_b64 s[16:17], s[14:15]
	s_xor_b64 s[14:15], exec, s[16:17]
	s_cbranch_execz .LBB10_58
; %bb.57:
	s_waitcnt vmcnt(0) lgkmcnt(0)
	flat_load_dwordx2 v[4:5], v[0:1]
                                        ; implicit-def: $vgpr0_vgpr1
.LBB10_58:
	s_andn2_saveexec_b64 s[14:15], s[14:15]
	s_cbranch_execz .LBB10_60
; %bb.59:
	flat_load_dword v0, v[0:1]
	s_waitcnt vmcnt(0) lgkmcnt(0)
	v_cvt_f64_f32_e32 v[4:5], v0
.LBB10_60:
	s_or_b64 exec, exec, s[14:15]
                                        ; implicit-def: $vgpr0_vgpr1
.LBB10_61:
	s_andn2_saveexec_b64 s[12:13], s[12:13]
	s_cbranch_execz .LBB10_63
; %bb.62:
	flat_load_ushort v0, v[0:1]
	s_waitcnt vmcnt(0) lgkmcnt(0)
	v_cvt_f32_f16_e32 v0, v0
	v_cvt_f64_f32_e32 v[4:5], v0
.LBB10_63:
	s_or_b64 exec, exec, s[12:13]
.LBB10_64:
	s_or_b64 exec, exec, s[10:11]
                                        ; implicit-def: $vgpr3
                                        ; implicit-def: $vgpr0_vgpr1
.LBB10_65:
	s_andn2_saveexec_b64 s[8:9], s[8:9]
	s_cbranch_execz .LBB10_83
; %bb.66:
	v_mov_b32_e32 v2, 1
	v_cmp_gt_i16_sdwa s[10:11], v3, v2 src0_sel:BYTE_0 src1_sel:DWORD
                                        ; implicit-def: $vgpr4_vgpr5
	s_and_saveexec_b64 s[12:13], s[10:11]
	s_xor_b64 s[10:11], exec, s[12:13]
	s_cbranch_execz .LBB10_76
; %bb.67:
	v_mov_b32_e32 v2, 2
	v_cmp_gt_i16_sdwa s[12:13], v3, v2 src0_sel:BYTE_0 src1_sel:DWORD
                                        ; implicit-def: $vgpr4_vgpr5
	s_and_saveexec_b64 s[14:15], s[12:13]
	s_xor_b64 s[12:13], exec, s[14:15]
	;; [unrolled: 7-line block ×3, first 2 shown]
	s_cbranch_execz .LBB10_70
; %bb.69:
	flat_load_dwordx2 v[0:1], v[0:1]
	s_waitcnt vmcnt(0) lgkmcnt(0)
	v_cvt_f64_i32_e32 v[1:2], v1
	v_cvt_f64_u32_e32 v[3:4], v0
	v_ldexp_f64 v[1:2], v[1:2], 32
	v_add_f64 v[4:5], v[1:2], v[3:4]
                                        ; implicit-def: $vgpr0_vgpr1
.LBB10_70:
	s_andn2_saveexec_b64 s[14:15], s[14:15]
	s_cbranch_execz .LBB10_72
; %bb.71:
	flat_load_dword v0, v[0:1]
	s_waitcnt vmcnt(0) lgkmcnt(0)
	v_cvt_f64_i32_e32 v[4:5], v0
.LBB10_72:
	s_or_b64 exec, exec, s[14:15]
                                        ; implicit-def: $vgpr0_vgpr1
.LBB10_73:
	s_andn2_saveexec_b64 s[12:13], s[12:13]
	s_cbranch_execz .LBB10_75
; %bb.74:
	flat_load_sshort v0, v[0:1]
	s_waitcnt vmcnt(0) lgkmcnt(0)
	v_cvt_f64_i32_e32 v[4:5], v0
.LBB10_75:
	s_or_b64 exec, exec, s[12:13]
                                        ; implicit-def: $vgpr0_vgpr1
                                        ; implicit-def: $vgpr3
.LBB10_76:
	s_andn2_saveexec_b64 s[10:11], s[10:11]
	s_cbranch_execz .LBB10_82
; %bb.77:
	v_mov_b32_e32 v2, 0
	v_cmp_gt_i16_sdwa s[12:13], v3, v2 src0_sel:BYTE_0 src1_sel:DWORD
                                        ; implicit-def: $vgpr4_vgpr5
	s_and_saveexec_b64 s[14:15], s[12:13]
	s_xor_b64 s[12:13], exec, s[14:15]
	s_cbranch_execz .LBB10_79
; %bb.78:
	flat_load_sbyte v0, v[0:1]
	s_waitcnt vmcnt(0) lgkmcnt(0)
	v_cvt_f64_i32_e32 v[4:5], v0
                                        ; implicit-def: $vgpr0_vgpr1
.LBB10_79:
	s_andn2_saveexec_b64 s[12:13], s[12:13]
	s_cbranch_execz .LBB10_81
; %bb.80:
	flat_load_ubyte v0, v[0:1]
	s_waitcnt vmcnt(0) lgkmcnt(0)
	v_cvt_f64_u32_e32 v[4:5], v0
.LBB10_81:
	s_or_b64 exec, exec, s[12:13]
.LBB10_82:
	s_or_b64 exec, exec, s[10:11]
.LBB10_83:
	s_or_b64 exec, exec, s[8:9]
	s_or_b64 s[6:7], s[6:7], exec
	s_or_b64 exec, exec, s[4:5]
                                        ; implicit-def: $vgpr0_vgpr1
	s_and_saveexec_b64 s[10:11], s[6:7]
	s_cbranch_execz .LBB10_134
.LBB10_84:
	s_mov_b32 s4, 0
	s_mov_b32 s5, 0x40140000
	s_waitcnt vmcnt(0) lgkmcnt(0)
	v_cmp_ge_f64_e32 vcc, s[4:5], v[4:5]
                                        ; implicit-def: $vgpr0_vgpr1
	s_and_saveexec_b64 s[4:5], vcc
	s_xor_b64 s[4:5], exec, s[4:5]
	s_cbranch_execz .LBB10_94
; %bb.85:
	v_cmp_neq_f64_e32 vcc, 0, v[4:5]
	v_mov_b32_e32 v0, 0
	v_mov_b32_e32 v1, 0xfff00000
	s_and_saveexec_b64 s[6:7], vcc
	s_cbranch_execz .LBB10_93
; %bb.86:
	v_cmp_ngt_f64_e32 vcc, 0, v[4:5]
	v_mov_b32_e32 v0, 0
	v_mov_b32_e32 v1, 0x7ff80000
	s_and_saveexec_b64 s[8:9], vcc
	s_cbranch_execz .LBB10_92
; %bb.87:
	v_mul_f64 v[0:1], v[4:5], v[4:5]
	s_mov_b32 s12, 0x88e368f1
	s_mov_b32 s13, 0x3ee4f8b5
	v_cmp_ngt_f64_e32 vcc, s[12:13], v[4:5]
                                        ; implicit-def: $vgpr2_vgpr3
	v_mul_f64 v[6:7], v[0:1], 0
	s_and_saveexec_b64 s[12:13], vcc
	s_xor_b64 s[12:13], exec, s[12:13]
	s_cbranch_execz .LBB10_89
; %bb.88:
	s_mov_b32 s14, 0xa696b78c
	s_mov_b32 s15, 0x407f3902
	v_add_f64 v[2:3], v[6:7], s[14:15]
	s_mov_b32 s14, 0x36a21a67
	s_mov_b32 s15, 0x410536cb
	;; [unrolled: 1-line block ×7, first 2 shown]
	v_fma_f64 v[2:3], v[0:1], v[2:3], s[14:15]
	s_mov_b32 s14, 0x2eac0634
	s_mov_b32 s15, 0x41871934
	;; [unrolled: 1-line block ×3, first 2 shown]
	v_fma_f64 v[2:3], v[0:1], v[2:3], s[14:15]
	s_mov_b32 s14, 0xad1c8325
	s_mov_b32 s15, 0xc1f1dc53
	v_add_f64 v[8:9], v[6:7], s[14:15]
	s_mov_b32 s14, 0xe0d900f7
	s_mov_b32 s15, 0xc2ec5614
	v_fma_f64 v[2:3], v[0:1], v[2:3], s[18:19]
	s_mov_b32 s18, 0x72182e46
	s_mov_b32 s19, 0x427ebeb3
	v_fma_f64 v[8:9], v[0:1], v[8:9], s[16:17]
	s_mov_b32 s16, 0x80462bbb
	s_mov_b32 s17, 0xc01721fb
	v_add_f64 v[10:11], v[0:1], s[16:17]
	s_mov_b32 s16, 0x69ff5fb4
	v_fma_f64 v[2:3], v[0:1], v[2:3], s[18:19]
	s_mov_b32 s18, 0xa621dd6f
	s_mov_b32 s19, 0xc03e78a4
	v_add_f64 v[12:13], v[0:1], s[18:19]
	v_fma_f64 v[8:9], v[0:1], v[8:9], s[14:15]
	s_mov_b32 s14, 0x7e7b2e9c
	s_mov_b32 s15, 0x435c4141
	;; [unrolled: 1-line block ×3, first 2 shown]
	v_fma_f64 v[2:3], v[0:1], v[2:3], s[20:21]
	v_mul_f64 v[10:11], v[10:11], v[12:13]
	v_fma_f64 v[8:9], v[0:1], v[8:9], s[16:17]
	v_fma_f64 v[2:3], v[0:1], v[2:3], s[14:15]
	s_mov_b32 s14, 0xc7b662cc
	s_mov_b32 s15, 0x43b7be34
	v_mul_f64 v[8:9], v[10:11], v[8:9]
	v_fma_f64 v[2:3], v[0:1], v[2:3], s[14:15]
	v_div_scale_f64 v[10:11], s[14:15], v[2:3], v[2:3], v[8:9]
	v_div_scale_f64 v[16:17], vcc, v[8:9], v[2:3], v[8:9]
	v_rcp_f64_e32 v[12:13], v[10:11]
	v_fma_f64 v[14:15], -v[10:11], v[12:13], 1.0
	v_fma_f64 v[12:13], v[12:13], v[14:15], v[12:13]
	v_fma_f64 v[14:15], -v[10:11], v[12:13], 1.0
	v_fma_f64 v[12:13], v[12:13], v[14:15], v[12:13]
	v_mul_f64 v[14:15], v[16:17], v[12:13]
	v_fma_f64 v[10:11], -v[10:11], v[14:15], v[16:17]
	v_div_fmas_f64 v[10:11], v[10:11], v[12:13], v[14:15]
	v_div_fixup_f64 v[2:3], v[10:11], v[2:3], v[8:9]
.LBB10_89:
	s_andn2_saveexec_b64 s[12:13], s[12:13]
	s_cbranch_execz .LBB10_91
; %bb.90:
	s_mov_b32 s14, 0
	s_mov_b32 s15, 0xbfd00000
	v_fma_f64 v[2:3], v[0:1], s[14:15], 1.0
.LBB10_91:
	s_or_b64 exec, exec, s[12:13]
	v_frexp_mant_f64_e32 v[8:9], v[4:5]
	s_mov_b32 s13, 0x3fe55555
	s_mov_b32 s12, 0x55555555
	;; [unrolled: 1-line block ×7, first 2 shown]
	v_cmp_gt_f64_e32 vcc, s[12:13], v[8:9]
	s_mov_b32 s25, 0x3fcc71c0
	s_mov_b32 s16, 0x32e48896
	;; [unrolled: 1-line block ×7, first 2 shown]
	v_cndmask_b32_e64 v10, 0, 1, vcc
	v_ldexp_f64 v[10:11], v[8:9], v10
	s_mov_b32 s12, 0x55555780
	s_mov_b32 s26, 0xd1d8cc02
	;; [unrolled: 1-line block ×3, first 2 shown]
	v_add_f64 v[12:13], v[10:11], 1.0
	v_add_f64 v[16:17], v[10:11], -1.0
	v_rcp_f64_e32 v[8:9], v[12:13]
	v_add_f64 v[18:19], v[12:13], -1.0
	v_add_f64 v[10:11], v[10:11], -v[18:19]
	v_fma_f64 v[14:15], -v[12:13], v[8:9], 1.0
	v_fma_f64 v[8:9], v[14:15], v[8:9], v[8:9]
	v_fma_f64 v[14:15], -v[12:13], v[8:9], 1.0
	v_fma_f64 v[14:15], v[14:15], v[8:9], v[8:9]
	v_mul_f64 v[8:9], v[16:17], v[14:15]
	v_mul_f64 v[20:21], v[12:13], v[8:9]
	v_fma_f64 v[12:13], v[8:9], v[12:13], -v[20:21]
	v_fma_f64 v[10:11], v[8:9], v[10:11], v[12:13]
	v_add_f64 v[12:13], v[20:21], v[10:11]
	v_add_f64 v[18:19], v[16:17], -v[12:13]
	v_add_f64 v[20:21], v[12:13], -v[20:21]
	;; [unrolled: 1-line block ×4, first 2 shown]
	v_frexp_exp_i32_f64_e32 v20, v[4:5]
	v_add_f64 v[12:13], v[16:17], -v[12:13]
	v_mov_b32_e32 v16, 0x6b47b09a
	v_mov_b32_e32 v17, 0x3fc38538
	v_subbrev_co_u32_e32 v20, vcc, 0, v20, vcc
	v_add_f64 v[10:11], v[10:11], v[12:13]
	v_add_f64 v[10:11], v[18:19], v[10:11]
	v_mul_f64 v[10:11], v[14:15], v[10:11]
	v_add_f64 v[12:13], v[8:9], v[10:11]
	v_mul_f64 v[14:15], v[12:13], v[12:13]
	v_add_f64 v[8:9], v[12:13], -v[8:9]
	v_fma_f64 v[16:17], v[14:15], s[14:15], v[16:17]
	s_mov_b32 s14, 0xe896898f
	s_mov_b32 s15, 0x40ce7437
	v_add_f64 v[18:19], v[6:7], s[14:15]
	s_mov_b32 s14, 0x9b27acf1
	s_mov_b32 s15, 0x3fd24924
	v_add_f64 v[6:7], v[6:7], s[22:23]
	s_mov_b32 s22, 0x998ef7b6
	v_fma_f64 v[16:17], v[14:15], v[16:17], s[20:21]
	s_mov_b32 s23, 0x3fd99999
	v_mul_f64 v[4:5], v[12:13], v[14:15]
	v_fma_f64 v[18:19], v[0:1], v[18:19], s[16:17]
	s_mov_b32 s20, 0xe1d6bd2b
	s_mov_b32 s21, 0xc26c957b
	v_add_f64 v[8:9], v[10:11], -v[8:9]
	s_mov_b32 s16, 0x660b4003
	v_fma_f64 v[16:17], v[14:15], v[16:17], s[24:25]
	s_mov_b32 s24, 0x3cc3ac2d
	s_mov_b32 s25, 0x42d3ea72
	v_fma_f64 v[18:19], v[0:1], v[18:19], s[18:19]
	s_mov_b32 s18, 0xfefa39ef
	s_mov_b32 s19, 0x3fe62e42
	;; [unrolled: 1-line block ×3, first 2 shown]
	v_ldexp_f64 v[8:9], v[8:9], 1
	v_fma_f64 v[16:17], v[14:15], v[16:17], s[14:15]
	s_mov_b32 s14, 0xa907bc0c
	s_mov_b32 s15, 0x41231b76
	v_fma_f64 v[6:7], v[0:1], v[6:7], s[14:15]
	s_mov_b32 s14, 0xc57e828e
	s_mov_b32 s15, 0x42b275fc
	;; [unrolled: 3-line block ×3, first 2 shown]
	v_fma_f64 v[6:7], v[0:1], v[6:7], s[22:23]
	v_fma_f64 v[14:15], v[14:15], v[16:17], s[12:13]
	v_fma_f64 v[16:17], v[0:1], v[18:19], s[20:21]
	v_ldexp_f64 v[18:19], v[12:13], 1
	s_mov_b32 s12, 0x2b8664bc
	s_mov_b32 s13, 0x42341ddb
	v_fma_f64 v[6:7], v[0:1], v[6:7], s[12:13]
	v_cvt_f64_i32_e32 v[12:13], v20
	s_mov_b32 s12, 0xdfeb596d
	v_mul_f64 v[4:5], v[4:5], v[14:15]
	v_fma_f64 v[14:15], v[0:1], v[16:17], s[24:25]
	v_mul_f64 v[20:21], v[12:13], s[18:19]
	s_mov_b32 s13, 0x43268910
	v_fma_f64 v[6:7], v[0:1], v[6:7], s[14:15]
	s_mov_b32 s14, 0xbcf9b5d0
	s_mov_b32 s15, 0x438bd25f
	v_add_f64 v[16:17], v[18:19], v[4:5]
	v_fma_f64 v[14:15], v[0:1], v[14:15], s[26:27]
	v_fma_f64 v[6:7], v[0:1], v[6:7], s[12:13]
	s_mov_b32 s12, 0x5906367b
	s_mov_b32 s13, 0xc3506d4b
	v_add_f64 v[18:19], v[16:17], -v[18:19]
	v_fma_f64 v[10:11], v[0:1], v[14:15], s[16:17]
	v_fma_f64 v[14:15], v[12:13], s[18:19], -v[20:21]
	v_fma_f64 v[6:7], v[0:1], v[6:7], s[14:15]
	v_add_f64 v[4:5], v[4:5], -v[18:19]
	v_fma_f64 v[0:1], v[0:1], v[10:11], s[12:13]
	s_mov_b32 s12, 0x3b39803f
	s_mov_b32 s13, 0x3c7abc9e
	v_fma_f64 v[10:11], v[12:13], s[12:13], v[14:15]
	v_add_f64 v[4:5], v[8:9], v[4:5]
	v_div_scale_f64 v[8:9], s[12:13], v[6:7], v[6:7], v[0:1]
	s_mov_b32 s12, 0x6dc9c883
	v_add_f64 v[12:13], v[20:21], v[10:11]
	s_mov_b32 s13, 0x3fe45f30
	v_add_f64 v[14:15], v[16:17], v[4:5]
	v_add_f64 v[20:21], v[12:13], -v[20:21]
	v_add_f64 v[18:19], v[12:13], v[14:15]
	v_rcp_f64_e32 v[22:23], v[8:9]
	v_add_f64 v[16:17], v[14:15], -v[16:17]
	v_add_f64 v[10:11], v[10:11], -v[20:21]
	;; [unrolled: 1-line block ×5, first 2 shown]
	v_fma_f64 v[28:29], -v[8:9], v[22:23], 1.0
	v_add_f64 v[14:15], v[14:15], -v[24:25]
	v_add_f64 v[20:21], v[10:11], v[4:5]
	v_add_f64 v[12:13], v[12:13], -v[26:27]
	v_fma_f64 v[16:17], v[22:23], v[28:29], v[22:23]
	v_div_scale_f64 v[22:23], vcc, v[0:1], v[6:7], v[0:1]
	v_add_f64 v[24:25], v[20:21], -v[10:11]
	v_add_f64 v[12:13], v[14:15], v[12:13]
	v_fma_f64 v[14:15], -v[8:9], v[16:17], 1.0
	v_add_f64 v[4:5], v[4:5], -v[24:25]
	v_add_f64 v[12:13], v[20:21], v[12:13]
	v_fma_f64 v[14:15], v[16:17], v[14:15], v[16:17]
	v_add_f64 v[16:17], v[20:21], -v[24:25]
	v_add_f64 v[20:21], v[18:19], v[12:13]
	v_mul_f64 v[26:27], v[22:23], v[14:15]
	v_add_f64 v[10:11], v[10:11], -v[16:17]
	v_add_f64 v[16:17], v[20:21], -v[18:19]
	v_fma_f64 v[8:9], -v[8:9], v[26:27], v[22:23]
	v_add_f64 v[4:5], v[4:5], v[10:11]
	v_add_f64 v[10:11], v[12:13], -v[16:17]
	v_div_fmas_f64 v[8:9], v[8:9], v[14:15], v[26:27]
	v_add_f64 v[4:5], v[4:5], v[10:11]
	v_add_f64 v[4:5], v[20:21], v[4:5]
	v_div_fixup_f64 v[0:1], v[8:9], v[6:7], v[0:1]
	v_mul_f64 v[4:5], v[4:5], s[12:13]
	v_fma_f64 v[0:1], v[4:5], v[2:3], v[0:1]
.LBB10_92:
	s_or_b64 exec, exec, s[8:9]
.LBB10_93:
	s_or_b64 exec, exec, s[6:7]
                                        ; implicit-def: $vgpr4_vgpr5
.LBB10_94:
	s_andn2_saveexec_b64 s[12:13], s[4:5]
	s_cbranch_execz .LBB10_133
; %bb.95:
	s_mov_b32 s9, 0xbfe921fb
	s_mov_b32 s8, 0x54442d18
	v_add_f64 v[0:1], v[4:5], s[8:9]
	s_mov_b32 s4, 0
	s_mov_b32 s5, 0x41d00000
                                        ; implicit-def: $vgpr36
                                        ; implicit-def: $vgpr2_vgpr3
                                        ; implicit-def: $vgpr6_vgpr7
	v_trig_preop_f64 v[16:17], |v[0:1]|, 0
	v_trig_preop_f64 v[14:15], |v[0:1]|, 1
	;; [unrolled: 1-line block ×3, first 2 shown]
	v_cmp_nlt_f64_e64 s[6:7], |v[0:1]|, s[4:5]
	s_and_saveexec_b64 s[4:5], s[6:7]
	s_xor_b64 s[14:15], exec, s[4:5]
	s_cbranch_execz .LBB10_126
; %bb.96:
	s_mov_b32 s4, 0
	s_mov_b32 s5, 0x7b000000
	s_movk_i32 s9, 0xff80
	v_ldexp_f64 v[2:3], |v[0:1]|, s9
	v_cmp_ge_f64_e64 vcc, |v[0:1]|, s[4:5]
	v_and_b32_e32 v6, 0x7fffffff, v1
	s_mov_b32 s4, 0
	s_mov_b32 s5, 0x7ff00000
	v_mov_b32_e32 v31, 0x40100000
	v_mov_b32_e32 v30, 0
	s_mov_b32 s9, 0x3ff921fb
	v_cndmask_b32_e32 v3, v6, v3, vcc
	v_cndmask_b32_e32 v2, v0, v2, vcc
	v_mul_f64 v[6:7], v[16:17], v[2:3]
	v_mul_f64 v[8:9], v[14:15], v[2:3]
	;; [unrolled: 1-line block ×3, first 2 shown]
	v_fma_f64 v[10:11], v[16:17], v[2:3], -v[6:7]
	v_fma_f64 v[26:27], v[14:15], v[2:3], -v[8:9]
	;; [unrolled: 1-line block ×3, first 2 shown]
	v_add_f64 v[18:19], v[8:9], v[10:11]
	v_add_f64 v[20:21], v[18:19], -v[8:9]
	v_add_f64 v[28:29], v[6:7], v[18:19]
	v_add_f64 v[22:23], v[18:19], -v[20:21]
	v_add_f64 v[10:11], v[10:11], -v[20:21]
	v_add_f64 v[20:21], v[24:25], v[26:27]
	v_add_f64 v[6:7], v[28:29], -v[6:7]
	v_add_f64 v[8:9], v[8:9], -v[22:23]
	v_ldexp_f64 v[22:23], v[28:29], -2
	v_add_f64 v[32:33], v[20:21], -v[24:25]
	v_add_f64 v[6:7], v[18:19], -v[6:7]
	v_add_f64 v[8:9], v[10:11], v[8:9]
	v_fract_f64_e32 v[10:11], v[22:23]
	v_cmp_neq_f64_e64 vcc, |v[22:23]|, s[4:5]
	v_add_f64 v[26:27], v[26:27], -v[32:33]
	v_add_f64 v[18:19], v[20:21], v[8:9]
	v_ldexp_f64 v[10:11], v[10:11], 2
	v_add_f64 v[22:23], v[6:7], v[18:19]
	v_cndmask_b32_e32 v11, 0, v11, vcc
	v_cndmask_b32_e32 v10, 0, v10, vcc
	v_add_f64 v[34:35], v[18:19], -v[20:21]
	v_add_f64 v[28:29], v[22:23], v[10:11]
	v_add_f64 v[6:7], v[22:23], -v[6:7]
	v_add_f64 v[36:37], v[18:19], -v[34:35]
	;; [unrolled: 1-line block ×3, first 2 shown]
	v_cmp_gt_f64_e32 vcc, 0, v[28:29]
	v_add_f64 v[28:29], v[20:21], -v[32:33]
	v_add_f64 v[6:7], v[18:19], -v[6:7]
	;; [unrolled: 1-line block ×3, first 2 shown]
	v_cndmask_b32_e32 v31, 0, v31, vcc
	v_add_f64 v[10:11], v[10:11], v[30:31]
	v_add_f64 v[28:29], v[24:25], -v[28:29]
	v_add_f64 v[8:9], v[8:9], v[20:21]
	v_add_f64 v[38:39], v[22:23], v[10:11]
	;; [unrolled: 1-line block ×3, first 2 shown]
	v_cvt_i32_f64_e32 v33, v[38:39]
	v_add_f64 v[8:9], v[26:27], v[8:9]
	v_cvt_f64_i32_e32 v[31:32], v33
	v_add_f64 v[10:11], v[10:11], -v[31:32]
	v_add_f64 v[2:3], v[2:3], v[8:9]
	v_add_f64 v[20:21], v[22:23], v[10:11]
	;; [unrolled: 1-line block ×3, first 2 shown]
	v_add_f64 v[8:9], v[20:21], -v[10:11]
	v_cmp_le_f64_e32 vcc, 0.5, v[20:21]
	v_add_f64 v[6:7], v[22:23], -v[8:9]
	v_mov_b32_e32 v8, 0x3ff00000
	v_cndmask_b32_e32 v31, 0, v8, vcc
	v_addc_co_u32_e64 v36, s[4:5], 0, v33, vcc
	s_mov_b32 s4, 0x33145c07
	s_mov_b32 s5, 0x3c91a626
	v_add_f64 v[2:3], v[2:3], v[6:7]
	v_add_f64 v[6:7], v[20:21], -v[30:31]
	v_add_f64 v[8:9], v[6:7], v[2:3]
	v_mul_f64 v[10:11], v[8:9], s[8:9]
	v_add_f64 v[6:7], v[8:9], -v[6:7]
	v_fma_f64 v[18:19], v[8:9], s[8:9], -v[10:11]
	v_add_f64 v[2:3], v[2:3], -v[6:7]
	v_fma_f64 v[6:7], v[8:9], s[4:5], v[18:19]
	v_fma_f64 v[6:7], v[2:3], s[8:9], v[6:7]
	v_add_f64 v[2:3], v[10:11], v[6:7]
	v_add_f64 v[8:9], v[2:3], -v[10:11]
	v_add_f64 v[6:7], v[6:7], -v[8:9]
	s_andn2_saveexec_b64 s[4:5], s[14:15]
	s_cbranch_execz .LBB10_128
	s_branch .LBB10_127
.LBB10_97:
	s_andn2_saveexec_b64 s[10:11], s[10:11]
	s_cbranch_execz .LBB10_37
.LBB10_98:
	v_mov_b32_e32 v2, 22
	v_cmp_gt_i16_sdwa s[6:7], v3, v2 src0_sel:BYTE_0 src1_sel:DWORD
	s_mov_b64 s[14:15], s[8:9]
                                        ; implicit-def: $vgpr4_vgpr5
	s_and_saveexec_b64 s[16:17], s[6:7]
	s_xor_b64 s[6:7], exec, s[16:17]
	s_cbranch_execz .LBB10_116
; %bb.99:
	v_mov_b32_e32 v2, 23
	v_cmp_gt_i16_sdwa s[14:15], v3, v2 src0_sel:BYTE_0 src1_sel:DWORD
                                        ; implicit-def: $vgpr4_vgpr5
	s_and_saveexec_b64 s[16:17], s[14:15]
	s_xor_b64 s[14:15], exec, s[16:17]
	s_cbranch_execz .LBB10_113
; %bb.100:
	v_mov_b32_e32 v2, 24
	v_cmp_gt_i16_sdwa s[16:17], v3, v2 src0_sel:BYTE_0 src1_sel:DWORD
                                        ; implicit-def: $vgpr4_vgpr5
	s_and_saveexec_b64 s[18:19], s[16:17]
	s_xor_b64 s[16:17], exec, s[18:19]
	s_cbranch_execz .LBB10_110
; %bb.101:
	flat_load_ubyte v2, v[0:1]
	s_movk_i32 s18, 0x7f
	s_waitcnt vmcnt(0) lgkmcnt(0)
	v_cmp_lt_i16_e32 vcc, s18, v2
	s_mov_b64 s[18:19], 0
	s_and_saveexec_b64 s[20:21], vcc
	s_xor_b64 s[20:21], exec, s[20:21]
	s_cbranch_execz .LBB10_105
; %bb.102:
	s_movk_i32 s18, 0x80
	v_cmp_eq_u16_e32 vcc, s18, v2
	s_mov_b64 s[18:19], -1
	s_and_saveexec_b64 s[22:23], vcc
; %bb.103:
	s_xor_b64 s[18:19], exec, -1
; %bb.104:
	s_or_b64 exec, exec, s[22:23]
	s_and_b64 s[18:19], s[18:19], exec
.LBB10_105:
	s_or_saveexec_b64 s[20:21], s[20:21]
	v_bfrev_b32_e32 v4, 4
	v_mov_b32_e32 v5, 0x7ff80000
	s_xor_b64 exec, exec, s[20:21]
; %bb.106:
	v_cmp_ne_u16_e32 vcc, 0, v2
	v_mov_b32_e32 v4, 0
	s_andn2_b64 s[18:19], s[18:19], exec
	s_and_b64 s[22:23], vcc, exec
	v_mov_b32_e32 v5, 0
	s_or_b64 s[18:19], s[18:19], s[22:23]
; %bb.107:
	s_or_b64 exec, exec, s[20:21]
	s_and_saveexec_b64 s[20:21], s[18:19]
	s_cbranch_execz .LBB10_109
; %bb.108:
	v_lshlrev_b32_e32 v3, 24, v2
	v_and_b32_e32 v2, 0xffff, v2
	v_and_b32_e32 v4, 3, v2
	v_ffbh_u32_e32 v6, v4
	v_min_u32_e32 v6, 32, v6
	v_subrev_u32_e32 v7, 29, v6
	v_bfe_u32 v5, v2, 2, 5
	v_lshlrev_b32_e32 v2, v7, v2
	v_sub_u32_e32 v6, 30, v6
	v_and_b32_e32 v2, 3, v2
	v_cmp_eq_u32_e32 vcc, 0, v5
	v_cndmask_b32_e32 v5, v5, v6, vcc
	v_cndmask_b32_e32 v2, v4, v2, vcc
	v_mov_b32_e32 v4, 0x37800000
	v_lshlrev_b32_e32 v2, 21, v2
	v_and_b32_e32 v3, 0x80000000, v3
	v_lshl_add_u32 v4, v5, 23, v4
	v_or3_b32 v2, v3, v4, v2
	v_cvt_f64_f32_e32 v[4:5], v2
.LBB10_109:
	s_or_b64 exec, exec, s[20:21]
.LBB10_110:
	s_andn2_saveexec_b64 s[16:17], s[16:17]
	s_cbranch_execz .LBB10_112
; %bb.111:
	flat_load_ubyte v2, v[0:1]
	s_mov_b32 s18, 0x7f800000
	s_waitcnt vmcnt(0) lgkmcnt(0)
	v_lshlrev_b32_e32 v2, 24, v2
	v_and_b32_e32 v3, 0x7f000000, v2
	v_ffbh_u32_e32 v4, v3
	v_min_u32_e32 v4, 32, v4
	v_sub_u32_e64 v4, v4, 4 clamp
	v_lshlrev_b32_e32 v6, v4, v3
	v_lshlrev_b32_e32 v4, 23, v4
	v_lshrrev_b32_e32 v6, 4, v6
	v_add_u32_e32 v5, 0x1000000, v3
	v_sub_u32_e32 v4, v6, v4
	v_ashrrev_i32_e32 v5, 8, v5
	v_add_u32_e32 v4, 0x3c000000, v4
	v_and_or_b32 v4, v5, s18, v4
	v_cmp_ne_u32_e32 vcc, 0, v3
	v_cndmask_b32_e32 v3, 0, v4, vcc
	s_brev_b32 s18, 1
	v_and_or_b32 v2, v2, s18, v3
	v_cvt_f64_f32_e32 v[4:5], v2
.LBB10_112:
	s_or_b64 exec, exec, s[16:17]
.LBB10_113:
	s_andn2_saveexec_b64 s[14:15], s[14:15]
	s_cbranch_execz .LBB10_115
; %bb.114:
	flat_load_ubyte v2, v[0:1]
	s_movk_i32 s16, 0x7f00
	s_brev_b32 s17, 16
	s_waitcnt vmcnt(0) lgkmcnt(0)
	v_lshlrev_b16_e32 v3, 8, v2
	v_lshlrev_b32_e32 v2, 25, v2
	v_lshrrev_b32_e32 v4, 4, v2
	v_and_or_b32 v5, v3, s16, 0.5
	v_or_b32_e32 v4, 0x70000000, v4
	v_add_f32_e32 v5, -0.5, v5
	v_mul_f32_e32 v4, 0x7800000, v4
	v_cmp_gt_u32_e32 vcc, s17, v2
	v_bfe_i32 v3, v3, 0, 16
	v_cndmask_b32_e32 v2, v4, v5, vcc
	s_brev_b32 s16, 1
	v_and_or_b32 v2, v3, s16, v2
	v_cvt_f64_f32_e32 v[4:5], v2
.LBB10_115:
	s_or_b64 exec, exec, s[14:15]
	s_or_b64 s[14:15], s[8:9], exec
                                        ; implicit-def: $vgpr3
.LBB10_116:
	s_or_saveexec_b64 s[6:7], s[6:7]
	s_mov_b64 s[18:19], 0
	s_mov_b64 s[16:17], s[12:13]
	s_xor_b64 exec, exec, s[6:7]
	s_cbranch_execz .LBB10_124
; %bb.117:
	v_mov_b32_e32 v2, 14
	v_cmp_gt_i16_sdwa s[20:21], v3, v2 src0_sel:BYTE_0 src1_sel:DWORD
	s_mov_b64 s[16:17], s[12:13]
	s_mov_b64 s[18:19], s[14:15]
                                        ; implicit-def: $vgpr4_vgpr5
	s_and_saveexec_b64 s[22:23], s[20:21]
	s_xor_b64 s[20:21], exec, s[22:23]
	s_cbranch_execz .LBB10_121
; %bb.118:
	v_mov_b32_e32 v2, 15
	v_cmp_eq_u16_sdwa s[24:25], v3, v2 src0_sel:BYTE_0 src1_sel:DWORD
	s_mov_b64 s[16:17], -1
	s_mov_b64 s[18:19], s[14:15]
                                        ; implicit-def: $vgpr4_vgpr5
	s_and_saveexec_b64 s[22:23], s[24:25]
	s_cbranch_execz .LBB10_120
; %bb.119:
	flat_load_ushort v2, v[0:1]
	s_or_b64 s[18:19], s[14:15], exec
	s_xor_b64 s[16:17], exec, -1
	s_waitcnt vmcnt(0) lgkmcnt(0)
	v_lshlrev_b32_e32 v2, 16, v2
	v_cvt_f64_f32_e32 v[4:5], v2
.LBB10_120:
	s_or_b64 exec, exec, s[22:23]
	s_andn2_b64 s[22:23], s[14:15], exec
	s_and_b64 s[18:19], s[18:19], exec
	s_or_b64 s[18:19], s[22:23], s[18:19]
	s_andn2_b64 s[22:23], s[12:13], exec
	s_and_b64 s[16:17], s[16:17], exec
	s_or_b64 s[16:17], s[22:23], s[16:17]
                                        ; implicit-def: $vgpr3
.LBB10_121:
	s_or_saveexec_b64 s[20:21], s[20:21]
	s_mov_b64 s[22:23], 0
	s_xor_b64 exec, exec, s[20:21]
; %bb.122:
	v_mov_b32_e32 v2, 11
	v_cmp_ne_u16_sdwa s[24:25], v3, v2 src0_sel:BYTE_0 src1_sel:DWORD
	s_andn2_b64 s[16:17], s[16:17], exec
	s_and_b64 s[24:25], s[24:25], exec
	s_mov_b64 s[22:23], exec
	s_or_b64 s[16:17], s[16:17], s[24:25]
; %bb.123:
	s_or_b64 exec, exec, s[20:21]
	s_andn2_b64 s[14:15], s[14:15], exec
	s_and_b64 s[18:19], s[18:19], exec
	s_andn2_b64 s[20:21], s[12:13], exec
	s_and_b64 s[16:17], s[16:17], exec
	s_or_b64 s[14:15], s[14:15], s[18:19]
	s_and_b64 s[18:19], s[22:23], exec
	s_or_b64 s[16:17], s[20:21], s[16:17]
.LBB10_124:
	s_or_b64 exec, exec, s[6:7]
	s_andn2_b64 s[6:7], s[8:9], exec
	s_and_b64 s[8:9], s[14:15], exec
	s_andn2_b64 s[12:13], s[12:13], exec
	s_and_b64 s[14:15], s[16:17], exec
	s_or_b64 s[8:9], s[6:7], s[8:9]
	s_and_b64 s[6:7], s[18:19], exec
	s_or_b64 s[12:13], s[12:13], s[14:15]
	s_or_b64 exec, exec, s[10:11]
	s_and_saveexec_b64 s[10:11], s[12:13]
	s_cbranch_execz .LBB10_38
.LBB10_125:
	s_trap 2
	; divergent unreachable
	s_andn2_b64 s[6:7], s[6:7], exec
	s_or_b64 exec, exec, s[10:11]
	s_and_saveexec_b64 s[10:11], s[6:7]
	s_xor_b64 s[6:7], exec, s[10:11]
	s_cbranch_execnz .LBB10_39
	s_branch .LBB10_40
.LBB10_126:
	s_andn2_saveexec_b64 s[4:5], s[14:15]
	s_cbranch_execz .LBB10_128
.LBB10_127:
	s_mov_b32 s8, 0x6dc9c883
	s_mov_b32 s9, 0x3fe45f30
	v_mul_f64 v[2:3], |v[0:1]|, s[8:9]
	s_mov_b32 s8, 0x54442d18
	s_mov_b32 s9, 0xbff921fb
	;; [unrolled: 1-line block ×4, first 2 shown]
	v_rndne_f64_e32 v[8:9], v[2:3]
	v_fma_f64 v[2:3], v[8:9], s[8:9], |v[0:1]|
	v_mul_f64 v[6:7], v[8:9], s[14:15]
	s_mov_b32 s8, 0x252049c0
	s_mov_b32 s9, 0xb97b839a
	v_cvt_i32_f64_e32 v36, v[8:9]
	v_fma_f64 v[20:21], v[8:9], s[14:15], v[2:3]
	v_add_f64 v[10:11], v[2:3], v[6:7]
	s_mov_b32 s15, 0x3c91a626
	v_add_f64 v[18:19], v[2:3], -v[10:11]
	v_add_f64 v[10:11], v[10:11], -v[20:21]
	v_add_f64 v[2:3], v[18:19], v[6:7]
	v_fma_f64 v[6:7], v[8:9], s[14:15], v[6:7]
	v_add_f64 v[2:3], v[10:11], v[2:3]
	v_add_f64 v[2:3], v[2:3], -v[6:7]
	v_fma_f64 v[6:7], v[8:9], s[8:9], v[2:3]
	v_add_f64 v[2:3], v[20:21], v[6:7]
	v_add_f64 v[10:11], v[2:3], -v[20:21]
	v_add_f64 v[6:7], v[6:7], -v[10:11]
.LBB10_128:
	s_or_b64 exec, exec, s[4:5]
                                        ; implicit-def: $vgpr37
                                        ; implicit-def: $vgpr8_vgpr9
                                        ; implicit-def: $vgpr10_vgpr11
	s_and_saveexec_b64 s[4:5], s[6:7]
	s_xor_b64 s[6:7], exec, s[4:5]
	s_cbranch_execz .LBB10_130
; %bb.129:
	s_mov_b32 s4, 0
	s_mov_b32 s5, 0x7b000000
	s_movk_i32 s8, 0xff80
	v_ldexp_f64 v[8:9], |v[0:1]|, s8
	v_cmp_ge_f64_e64 vcc, |v[0:1]|, s[4:5]
	v_and_b32_e32 v10, 0x7fffffff, v1
	s_mov_b32 s4, 0
	s_mov_b32 s5, 0x7ff00000
	v_mov_b32_e32 v31, 0x40100000
	v_mov_b32_e32 v30, 0
	s_mov_b32 s8, 0x33145c07
	s_mov_b32 s9, 0x3c91a626
	v_cndmask_b32_e32 v9, v10, v9, vcc
	v_cndmask_b32_e32 v8, v0, v8, vcc
	v_mul_f64 v[10:11], v[16:17], v[8:9]
	v_mul_f64 v[18:19], v[14:15], v[8:9]
	;; [unrolled: 1-line block ×3, first 2 shown]
	v_fma_f64 v[16:17], v[16:17], v[8:9], -v[10:11]
	v_fma_f64 v[14:15], v[14:15], v[8:9], -v[18:19]
	;; [unrolled: 1-line block ×3, first 2 shown]
	v_add_f64 v[20:21], v[18:19], v[16:17]
	v_add_f64 v[22:23], v[20:21], -v[18:19]
	v_add_f64 v[28:29], v[10:11], v[20:21]
	v_add_f64 v[24:25], v[20:21], -v[22:23]
	v_add_f64 v[16:17], v[16:17], -v[22:23]
	v_add_f64 v[22:23], v[26:27], v[14:15]
	v_add_f64 v[10:11], v[28:29], -v[10:11]
	v_add_f64 v[18:19], v[18:19], -v[24:25]
	v_ldexp_f64 v[24:25], v[28:29], -2
	v_add_f64 v[32:33], v[22:23], -v[26:27]
	v_add_f64 v[10:11], v[20:21], -v[10:11]
	v_add_f64 v[16:17], v[16:17], v[18:19]
	v_fract_f64_e32 v[18:19], v[24:25]
	v_cmp_neq_f64_e64 vcc, |v[24:25]|, s[4:5]
	v_add_f64 v[14:15], v[14:15], -v[32:33]
	v_add_f64 v[20:21], v[22:23], v[16:17]
	v_ldexp_f64 v[18:19], v[18:19], 2
	v_add_f64 v[24:25], v[10:11], v[20:21]
	v_cndmask_b32_e32 v19, 0, v19, vcc
	v_cndmask_b32_e32 v18, 0, v18, vcc
	v_add_f64 v[34:35], v[20:21], -v[22:23]
	v_add_f64 v[28:29], v[24:25], v[18:19]
	v_add_f64 v[10:11], v[24:25], -v[10:11]
	v_add_f64 v[37:38], v[20:21], -v[34:35]
	;; [unrolled: 1-line block ×3, first 2 shown]
	v_cmp_gt_f64_e32 vcc, 0, v[28:29]
	v_add_f64 v[28:29], v[22:23], -v[32:33]
	v_add_f64 v[10:11], v[20:21], -v[10:11]
	;; [unrolled: 1-line block ×3, first 2 shown]
	v_cndmask_b32_e32 v31, 0, v31, vcc
	v_add_f64 v[18:19], v[18:19], v[30:31]
	v_add_f64 v[28:29], v[26:27], -v[28:29]
	v_add_f64 v[16:17], v[16:17], v[22:23]
	v_add_f64 v[48:49], v[24:25], v[18:19]
	;; [unrolled: 1-line block ×3, first 2 shown]
	v_cvt_i32_f64_e32 v33, v[48:49]
	v_add_f64 v[12:13], v[14:15], v[16:17]
	v_cvt_f64_i32_e32 v[31:32], v33
	v_add_f64 v[18:19], v[18:19], -v[31:32]
	v_add_f64 v[8:9], v[8:9], v[12:13]
	v_add_f64 v[14:15], v[24:25], v[18:19]
	;; [unrolled: 1-line block ×3, first 2 shown]
	v_add_f64 v[12:13], v[14:15], -v[18:19]
	v_cmp_le_f64_e32 vcc, 0.5, v[14:15]
	v_add_f64 v[10:11], v[24:25], -v[12:13]
	v_mov_b32_e32 v12, 0x3ff00000
	v_cndmask_b32_e32 v31, 0, v12, vcc
	v_addc_co_u32_e64 v37, s[4:5], 0, v33, vcc
	s_mov_b32 s4, 0x54442d18
	s_mov_b32 s5, 0x3ff921fb
	v_add_f64 v[8:9], v[8:9], v[10:11]
	v_add_f64 v[10:11], v[14:15], -v[30:31]
	v_add_f64 v[12:13], v[10:11], v[8:9]
	v_mul_f64 v[14:15], v[12:13], s[4:5]
	v_add_f64 v[10:11], v[12:13], -v[10:11]
	v_fma_f64 v[16:17], v[12:13], s[4:5], -v[14:15]
	v_add_f64 v[8:9], v[8:9], -v[10:11]
	v_fma_f64 v[10:11], v[12:13], s[8:9], v[16:17]
	v_fma_f64 v[10:11], v[8:9], s[4:5], v[10:11]
	v_add_f64 v[8:9], v[14:15], v[10:11]
	v_add_f64 v[12:13], v[8:9], -v[14:15]
	v_add_f64 v[10:11], v[10:11], -v[12:13]
	s_andn2_saveexec_b64 s[4:5], s[6:7]
	s_cbranch_execnz .LBB10_131
	s_branch .LBB10_132
.LBB10_130:
	s_andn2_saveexec_b64 s[4:5], s[6:7]
	s_cbranch_execz .LBB10_132
.LBB10_131:
	s_mov_b32 s6, 0x6dc9c883
	s_mov_b32 s7, 0x3fe45f30
	v_mul_f64 v[8:9], |v[0:1]|, s[6:7]
	s_mov_b32 s6, 0x54442d18
	s_mov_b32 s7, 0xbff921fb
	;; [unrolled: 1-line block ×4, first 2 shown]
	v_rndne_f64_e32 v[12:13], v[8:9]
	v_fma_f64 v[8:9], v[12:13], s[6:7], |v[0:1]|
	v_mul_f64 v[10:11], v[12:13], s[8:9]
	s_mov_b32 s6, 0x252049c0
	s_mov_b32 s7, 0xb97b839a
	v_cvt_i32_f64_e32 v37, v[12:13]
	v_fma_f64 v[18:19], v[12:13], s[8:9], v[8:9]
	v_add_f64 v[14:15], v[8:9], v[10:11]
	s_mov_b32 s9, 0x3c91a626
	v_add_f64 v[16:17], v[8:9], -v[14:15]
	v_add_f64 v[14:15], v[14:15], -v[18:19]
	v_add_f64 v[8:9], v[16:17], v[10:11]
	v_fma_f64 v[10:11], v[12:13], s[8:9], v[10:11]
	v_add_f64 v[8:9], v[14:15], v[8:9]
	v_add_f64 v[8:9], v[8:9], -v[10:11]
	v_fma_f64 v[10:11], v[12:13], s[6:7], v[8:9]
	v_add_f64 v[8:9], v[18:19], v[10:11]
	v_add_f64 v[14:15], v[8:9], -v[18:19]
	v_add_f64 v[10:11], v[10:11], -v[14:15]
.LBB10_132:
	s_or_b64 exec, exec, s[4:5]
	v_mul_f64 v[16:17], v[4:5], v[4:5]
	s_mov_b32 s6, 0
	s_mov_b32 s7, 0x40390000
	v_mov_b32_e32 v24, 0x983b6b27
	v_mov_b32_e32 v25, 0x3f4a1d30
	;; [unrolled: 1-line block ×4, first 2 shown]
	s_mov_b32 s8, 0xb35dd1cf
	v_div_scale_f64 v[14:15], s[4:5], v[16:17], v[16:17], s[6:7]
	s_mov_b32 s22, 0xab5454e3
	s_mov_b32 s9, 0x3fb534b0
	;; [unrolled: 1-line block ×14, first 2 shown]
	v_rcp_f64_e32 v[12:13], v[14:15]
	s_mov_b32 s44, 0xea1b21a1
	s_mov_b32 s43, 0x40217e8c
	;; [unrolled: 1-line block ×8, first 2 shown]
	v_mov_b32_e32 v49, s5
	s_mov_b32 s21, 0xbda907db
	v_mov_b32_e32 v48, s4
	s_mov_b32 s18, 0xa17f65f6
	s_mov_b32 s19, 0xbe927e4f
	;; [unrolled: 1-line block ×4, first 2 shown]
	v_fma_f64 v[18:19], -v[14:15], v[12:13], 1.0
	s_mov_b32 s16, 0x16c16967
	s_mov_b32 s17, 0xbf56c16c
	v_mul_f64 v[46:47], v[10:11], 0.5
	s_mov_b32 s4, 0
	s_brev_b32 s5, 8
	v_cmp_gt_f64_e64 s[4:5], s[4:5], v[4:5]
	v_fma_f64 v[12:13], v[12:13], v[18:19], v[12:13]
	v_div_scale_f64 v[18:19], vcc, s[6:7], v[16:17], s[6:7]
	v_fma_f64 v[20:21], -v[14:15], v[12:13], 1.0
	v_fma_f64 v[20:21], v[12:13], v[20:21], v[12:13]
	v_mul_f64 v[12:13], v[2:3], v[2:3]
	v_mul_f64 v[22:23], v[18:19], v[20:21]
	v_fma_f64 v[18:19], -v[14:15], v[22:23], v[18:19]
	v_mul_f64 v[14:15], v[8:9], v[8:9]
	v_div_fmas_f64 v[18:19], v[18:19], v[20:21], v[22:23]
	v_mul_f64 v[56:57], v[14:15], v[14:15]
	v_div_fixup_f64 v[22:23], v[18:19], v[16:17], s[6:7]
	v_mov_b32_e32 v16, 0x38a5384a
	v_mov_b32_e32 v17, 0xbf874742
	s_mov_b32 s6, 0xa59425a1
	s_mov_b32 s7, 0x40153684
	v_fma_f64 v[18:19], v[22:23], 0, v[26:27]
	v_fma_f64 v[20:21], v[22:23], 0, v[24:25]
	;; [unrolled: 1-line block ×3, first 2 shown]
	v_mov_b32_e32 v24, 0x413c25ac
	v_mov_b32_e32 v25, 0x40501457
	v_fma_f64 v[24:25], v[22:23], 0, v[24:25]
	v_fma_f64 v[18:19], v[22:23], v[18:19], s[22:23]
	;; [unrolled: 1-line block ×4, first 2 shown]
	s_mov_b32 s22, 0xb1759c7f
	s_mov_b32 s23, 0x408ac370
	v_fma_f64 v[24:25], v[22:23], v[24:25], s[22:23]
	s_mov_b32 s8, 0xf50e2c0c
	s_mov_b32 s9, 0xc0338dcf
	v_fma_f64 v[18:19], v[22:23], v[18:19], s[26:27]
	v_fma_f64 v[20:21], v[22:23], v[20:21], s[24:25]
	v_fma_f64 v[16:17], v[22:23], v[16:17], s[8:9]
	s_mov_b32 s22, 0xbd748cb5
	s_mov_b32 s23, 0x40ae54cd
	v_fma_f64 v[24:25], v[22:23], v[24:25], s[22:23]
	s_mov_b32 s8, 0x5a6de8c4
	s_mov_b32 s9, 0xc0574d2f
	v_fma_f64 v[18:19], v[22:23], v[18:19], s[40:41]
	v_fma_f64 v[20:21], v[22:23], v[20:21], s[28:29]
	v_fma_f64 v[16:17], v[22:23], v[16:17], s[8:9]
	;; [unrolled: 8-line block ×4, first 2 shown]
	s_mov_b32 s8, 0xc7319e82
	s_mov_b32 s9, 0x40a01c2f
	v_fma_f64 v[24:25], v[22:23], v[24:25], s[8:9]
	s_mov_b32 s6, 0x55b218cd
	s_mov_b32 s8, 0x6280a54
	v_fma_f64 v[16:17], v[22:23], v[18:19], 1.0
	v_fma_f64 v[18:19], v[22:23], v[20:21], 1.0
	s_mov_b32 s7, 0xc049b48c
	s_mov_b32 s9, 0x406e402f
	v_fma_f64 v[26:27], v[22:23], v[26:27], s[6:7]
	v_fma_f64 v[20:21], v[22:23], v[24:25], s[8:9]
	s_mov_b32 s6, 0xd1b9a1dd
	s_mov_b32 s22, 0
	;; [unrolled: 1-line block ×3, first 2 shown]
	v_div_scale_f64 v[38:39], s[8:9], v[16:17], v[16:17], v[18:19]
	s_mov_b32 s23, 0x40140000
	v_fma_f64 v[22:23], v[22:23], v[26:27], s[6:7]
	v_div_scale_f64 v[32:33], s[6:7], v[4:5], v[4:5], s[22:23]
	v_fma_f64 v[24:25], v[14:15], s[20:21], v[48:49]
	v_mul_f64 v[26:27], v[14:15], 0.5
	s_mov_b32 s6, 0xb42fdfa7
	s_mov_b32 s7, 0xbe5ae600
	;; [unrolled: 1-line block ×3, first 2 shown]
	v_div_scale_f64 v[34:35], s[8:9], v[20:21], v[20:21], v[22:23]
	v_mov_b32_e32 v53, s7
	v_fma_f64 v[30:31], v[14:15], v[24:25], s[18:19]
	v_add_f64 v[24:25], -v[26:27], 1.0
	v_rcp_f64_e32 v[28:29], v[38:39]
	s_mov_b32 s41, 0x3de5e0b2
	v_mov_b32_e32 v52, s6
	v_fma_f64 v[40:41], v[14:15], s[40:41], v[52:53]
	v_rcp_f64_e32 v[50:51], v[32:33]
	s_mov_b32 s42, 0x796cde01
	v_fma_f64 v[30:31], v[14:15], v[30:31], s[14:15]
	v_add_f64 v[42:43], -v[24:25], 1.0
	s_mov_b32 s43, 0x3ec71de3
	s_mov_b32 s28, 0x19e83e5c
	;; [unrolled: 1-line block ×3, first 2 shown]
	v_rcp_f64_e32 v[54:55], v[34:35]
	v_fma_f64 v[40:41], v[14:15], v[40:41], s[42:43]
	s_mov_b32 s24, 0x55555555
	v_fma_f64 v[30:31], v[14:15], v[30:31], s[16:17]
	v_add_f64 v[26:27], v[42:43], -v[26:27]
	v_fma_f64 v[44:45], -v[38:39], v[28:29], 1.0
	s_mov_b32 s25, 0x3fa55555
	s_mov_b32 s26, 0x11110bb3
	;; [unrolled: 1-line block ×3, first 2 shown]
	v_fma_f64 v[42:43], -v[32:33], v[50:51], 1.0
	v_fma_f64 v[40:41], v[14:15], v[40:41], s[28:29]
	v_fma_f64 v[58:59], v[14:15], v[30:31], s[24:25]
	v_fma_f64 v[26:27], v[8:9], -v[10:11], v[26:27]
	v_fma_f64 v[44:45], v[28:29], v[44:45], v[28:29]
	v_mul_f64 v[30:31], v[8:9], -v[14:15]
	v_fma_f64 v[52:53], v[12:13], s[40:41], v[52:53]
	v_fma_f64 v[28:29], -v[34:35], v[54:55], 1.0
	v_fma_f64 v[50:51], v[50:51], v[42:43], v[50:51]
	v_div_scale_f64 v[42:43], vcc, v[18:19], v[16:17], v[18:19]
	v_fma_f64 v[40:41], v[14:15], v[40:41], s[26:27]
	v_fma_f64 v[60:61], -v[38:39], v[44:45], 1.0
	v_fma_f64 v[48:49], v[12:13], s[20:21], v[48:49]
	v_fma_f64 v[52:53], v[12:13], v[52:53], s[42:43]
	;; [unrolled: 1-line block ×4, first 2 shown]
	v_fma_f64 v[26:27], -v[32:33], v[50:51], 1.0
	v_div_scale_f64 v[58:59], s[6:7], s[22:23], v[4:5], s[22:23]
	v_fma_f64 v[44:45], v[44:45], v[60:61], v[44:45]
	v_fma_f64 v[40:41], v[30:31], v[40:41], v[46:47]
	v_div_scale_f64 v[46:47], s[8:9], v[22:23], v[20:21], v[22:23]
	v_fma_f64 v[56:57], -v[34:35], v[54:55], 1.0
	v_fma_f64 v[50:51], v[50:51], v[26:27], v[50:51]
	v_mov_b32_e32 v26, 0x100
	v_cndmask_b32_e64 v26, 0, v26, s[4:5]
	v_mul_f64 v[60:61], v[42:43], v[44:45]
	v_ldexp_f64 v[26:27], v[4:5], v26
	v_fma_f64 v[10:11], v[14:15], v[40:41], -v[10:11]
	v_fma_f64 v[52:53], v[12:13], v[52:53], s[28:29]
	v_fma_f64 v[54:55], v[54:55], v[56:57], v[54:55]
	;; [unrolled: 1-line block ×3, first 2 shown]
	v_mul_f64 v[40:41], v[58:59], v[50:51]
	v_mul_f64 v[56:57], v[6:7], 0.5
	v_fma_f64 v[38:39], -v[38:39], v[60:61], v[42:43]
	v_rsq_f64_e32 v[14:15], v[26:27]
	v_mul_f64 v[42:43], v[12:13], 0.5
	v_fma_f64 v[52:53], v[12:13], v[52:53], s[26:27]
	s_mov_b32 s19, 0xbfc55555
	v_fma_f64 v[48:49], v[12:13], v[48:49], s[14:15]
	v_fma_f64 v[32:33], -v[32:33], v[40:41], v[58:59]
	s_mov_b32 s18, s24
	v_div_fmas_f64 v[38:39], v[38:39], v[44:45], v[60:61]
	v_mul_f64 v[44:45], v[46:47], v[54:55]
	v_add_f64 v[58:59], -v[42:43], 1.0
	s_mov_b64 vcc, s[6:7]
	v_fma_f64 v[10:11], v[30:31], s[18:19], v[10:11]
	v_fma_f64 v[48:49], v[12:13], v[48:49], s[16:17]
	v_div_fmas_f64 v[32:33], v[32:33], v[50:51], v[40:41]
	s_mov_b64 vcc, s[8:9]
	v_add_f64 v[24:25], v[24:25], v[28:29]
	v_fma_f64 v[34:35], -v[34:35], v[44:45], v[46:47]
	v_mul_f64 v[50:51], v[26:27], v[14:15]
	v_mul_f64 v[14:15], v[14:15], 0.5
	v_add_f64 v[40:41], -v[58:59], 1.0
	v_and_b32_e32 v46, 1, v36
	v_fma_f64 v[48:49], v[12:13], v[48:49], s[24:25]
	v_add_f64 v[8:9], v[8:9], -v[10:11]
	s_movk_i32 s6, 0x1f8
	v_div_fmas_f64 v[34:35], v[34:35], v[54:55], v[44:45]
	v_mul_f64 v[54:55], v[2:3], -v[12:13]
	v_fma_f64 v[44:45], -v[14:15], v[50:51], 0.5
	v_add_f64 v[40:41], v[40:41], -v[42:43]
	v_and_b32_e32 v42, 1, v37
	v_lshlrev_b32_e32 v43, 30, v37
	v_div_fixup_f64 v[4:5], v[32:33], v[4:5], s[22:23]
	v_cmp_class_f64_e64 s[6:7], v[0:1], s6
	v_cmp_eq_u32_e32 vcc, 0, v42
	v_fma_f64 v[52:53], v[54:55], v[52:53], v[56:57]
	v_fma_f64 v[50:51], v[50:51], v[44:45], v[50:51]
	v_fma_f64 v[40:41], v[2:3], -v[6:7], v[40:41]
	v_lshlrev_b32_e32 v56, 30, v36
	v_mul_f64 v[36:37], v[12:13], v[12:13]
	v_mov_b32_e32 v47, 0x7ff80000
	v_cndmask_b32_e32 v8, v8, v24, vcc
	v_div_fixup_f64 v[10:11], v[34:35], v[20:21], v[22:23]
	v_fma_f64 v[6:7], v[12:13], v[52:53], -v[6:7]
	v_fma_f64 v[12:13], v[14:15], v[44:45], v[14:15]
	v_fma_f64 v[14:15], -v[50:51], v[50:51], v[26:27]
	v_xor_b32_e32 v53, v56, v1
	v_fma_f64 v[30:31], v[36:37], v[48:49], v[40:41]
	v_and_b32_e32 v52, 0x80000000, v43
	v_and_b32_e32 v22, 0x80000000, v53
	v_fma_f64 v[6:7], v[54:55], s[18:19], v[6:7]
	v_fma_f64 v[14:15], v[14:15], v[12:13], v[50:51]
	v_add_f64 v[20:21], v[58:59], v[30:31]
	v_add_f64 v[0:1], v[2:3], -v[6:7]
	v_mul_f64 v[2:3], v[4:5], v[10:11]
	v_xor_b32_e32 v6, 0x80000000, v9
	v_cndmask_b32_e32 v7, v6, v25, vcc
	v_xor_b32_e32 v7, v7, v52
	v_fma_f64 v[4:5], -v[14:15], v[14:15], v[26:27]
	v_cndmask_b32_e64 v6, 0, v8, s[6:7]
	v_cndmask_b32_e64 v7, v47, v7, s[6:7]
	v_div_fixup_f64 v[8:9], v[38:39], v[16:17], v[18:19]
	v_mul_f64 v[2:3], v[2:3], v[6:7]
	v_cmp_eq_u32_e32 vcc, 0, v46
	v_cndmask_b32_e32 v6, v20, v0, vcc
	v_cndmask_b32_e32 v0, v21, v1, vcc
	v_xor_b32_e32 v7, v0, v22
	v_fma_f64 v[0:1], v[4:5], v[12:13], v[14:15]
	v_cndmask_b32_e64 v4, 0, v6, s[6:7]
	v_cndmask_b32_e64 v5, v47, v7, s[6:7]
	v_fma_f64 v[2:3], v[8:9], v[4:5], v[2:3]
	v_mov_b32_e32 v4, 0xffffff80
	v_mov_b32_e32 v5, 0x260
	s_mov_b32 s6, 0x33d43651
	v_cndmask_b32_e64 v4, 0, v4, s[4:5]
	s_mov_b32 s7, 0x3fe98845
	v_ldexp_f64 v[0:1], v[0:1], v4
	v_cmp_class_f64_e32 vcc, v[26:27], v5
	v_mul_f64 v[2:3], v[2:3], s[6:7]
	v_cndmask_b32_e32 v1, v1, v27, vcc
	v_cndmask_b32_e32 v0, v0, v26, vcc
	v_div_scale_f64 v[4:5], s[4:5], v[0:1], v[0:1], v[2:3]
	v_div_scale_f64 v[10:11], vcc, v[2:3], v[0:1], v[2:3]
	v_rcp_f64_e32 v[6:7], v[4:5]
	v_fma_f64 v[8:9], -v[4:5], v[6:7], 1.0
	v_fma_f64 v[6:7], v[6:7], v[8:9], v[6:7]
	v_fma_f64 v[8:9], -v[4:5], v[6:7], 1.0
	v_fma_f64 v[6:7], v[6:7], v[8:9], v[6:7]
	v_mul_f64 v[8:9], v[10:11], v[6:7]
	v_fma_f64 v[4:5], -v[4:5], v[8:9], v[10:11]
	v_div_fmas_f64 v[4:5], v[4:5], v[6:7], v[8:9]
	v_div_fixup_f64 v[0:1], v[4:5], v[0:1], v[2:3]
.LBB10_133:
	s_or_b64 exec, exec, s[12:13]
.LBB10_134:
	s_or_b64 exec, exec, s[10:11]
	buffer_load_dword v61, off, s[0:3], s32 ; 4-byte Folded Reload
	buffer_load_dword v60, off, s[0:3], s32 offset:4 ; 4-byte Folded Reload
	buffer_load_dword v59, off, s[0:3], s32 offset:8 ; 4-byte Folded Reload
	;; [unrolled: 1-line block ×13, first 2 shown]
	s_waitcnt vmcnt(0) lgkmcnt(0)
	s_setpc_b64 s[30:31]
.Lfunc_end10:
	.size	_ZN2at6native6invokeIZZZNS0_12_GLOBAL__N_121bessel_y0_kernel_cudaERNS_18TensorIteratorBaseEENKUlvE_clEvENKUlvE_clEvEUldE_j15function_traitsIS7_EEENT1_11result_typeERKT_PrKPcPKT0_PKN3c1010ScalarTypeEi, .Lfunc_end10-_ZN2at6native6invokeIZZZNS0_12_GLOBAL__N_121bessel_y0_kernel_cudaERNS_18TensorIteratorBaseEENKUlvE_clEvENKUlvE_clEvEUldE_j15function_traitsIS7_EEENT1_11result_typeERKT_PrKPcPKT0_PKN3c1010ScalarTypeEi
                                        ; -- End function
	.set .L_ZN2at6native6invokeIZZZNS0_12_GLOBAL__N_121bessel_y0_kernel_cudaERNS_18TensorIteratorBaseEENKUlvE_clEvENKUlvE_clEvEUldE_j15function_traitsIS7_EEENT1_11result_typeERKT_PrKPcPKT0_PKN3c1010ScalarTypeEi.num_vgpr, 62
	.set .L_ZN2at6native6invokeIZZZNS0_12_GLOBAL__N_121bessel_y0_kernel_cudaERNS_18TensorIteratorBaseEENKUlvE_clEvENKUlvE_clEvEUldE_j15function_traitsIS7_EEENT1_11result_typeERKT_PrKPcPKT0_PKN3c1010ScalarTypeEi.num_agpr, 0
	.set .L_ZN2at6native6invokeIZZZNS0_12_GLOBAL__N_121bessel_y0_kernel_cudaERNS_18TensorIteratorBaseEENKUlvE_clEvENKUlvE_clEvEUldE_j15function_traitsIS7_EEENT1_11result_typeERKT_PrKPcPKT0_PKN3c1010ScalarTypeEi.numbered_sgpr, 58
	.set .L_ZN2at6native6invokeIZZZNS0_12_GLOBAL__N_121bessel_y0_kernel_cudaERNS_18TensorIteratorBaseEENKUlvE_clEvENKUlvE_clEvEUldE_j15function_traitsIS7_EEENT1_11result_typeERKT_PrKPcPKT0_PKN3c1010ScalarTypeEi.num_named_barrier, 0
	.set .L_ZN2at6native6invokeIZZZNS0_12_GLOBAL__N_121bessel_y0_kernel_cudaERNS_18TensorIteratorBaseEENKUlvE_clEvENKUlvE_clEvEUldE_j15function_traitsIS7_EEENT1_11result_typeERKT_PrKPcPKT0_PKN3c1010ScalarTypeEi.private_seg_size, 60
	.set .L_ZN2at6native6invokeIZZZNS0_12_GLOBAL__N_121bessel_y0_kernel_cudaERNS_18TensorIteratorBaseEENKUlvE_clEvENKUlvE_clEvEUldE_j15function_traitsIS7_EEENT1_11result_typeERKT_PrKPcPKT0_PKN3c1010ScalarTypeEi.uses_vcc, 1
	.set .L_ZN2at6native6invokeIZZZNS0_12_GLOBAL__N_121bessel_y0_kernel_cudaERNS_18TensorIteratorBaseEENKUlvE_clEvENKUlvE_clEvEUldE_j15function_traitsIS7_EEENT1_11result_typeERKT_PrKPcPKT0_PKN3c1010ScalarTypeEi.uses_flat_scratch, 0
	.set .L_ZN2at6native6invokeIZZZNS0_12_GLOBAL__N_121bessel_y0_kernel_cudaERNS_18TensorIteratorBaseEENKUlvE_clEvENKUlvE_clEvEUldE_j15function_traitsIS7_EEENT1_11result_typeERKT_PrKPcPKT0_PKN3c1010ScalarTypeEi.has_dyn_sized_stack, 0
	.set .L_ZN2at6native6invokeIZZZNS0_12_GLOBAL__N_121bessel_y0_kernel_cudaERNS_18TensorIteratorBaseEENKUlvE_clEvENKUlvE_clEvEUldE_j15function_traitsIS7_EEENT1_11result_typeERKT_PrKPcPKT0_PKN3c1010ScalarTypeEi.has_recursion, 0
	.set .L_ZN2at6native6invokeIZZZNS0_12_GLOBAL__N_121bessel_y0_kernel_cudaERNS_18TensorIteratorBaseEENKUlvE_clEvENKUlvE_clEvEUldE_j15function_traitsIS7_EEENT1_11result_typeERKT_PrKPcPKT0_PKN3c1010ScalarTypeEi.has_indirect_call, 0
	.section	.AMDGPU.csdata,"",@progbits
; Function info:
; codeLenInByte = 8168
; TotalNumSgprs: 62
; NumVgprs: 62
; ScratchSize: 60
; MemoryBound: 1
	.section	.text._ZN2at6native32elementwise_kernel_manual_unrollILi128ELi4EZNS0_15gpu_kernel_implIZZZNS0_12_GLOBAL__N_121bessel_y0_kernel_cudaERNS_18TensorIteratorBaseEENKUlvE_clEvENKUlvE_clEvEUldE_EEvS5_RKT_EUlibE0_EEviT1_,"axG",@progbits,_ZN2at6native32elementwise_kernel_manual_unrollILi128ELi4EZNS0_15gpu_kernel_implIZZZNS0_12_GLOBAL__N_121bessel_y0_kernel_cudaERNS_18TensorIteratorBaseEENKUlvE_clEvENKUlvE_clEvEUldE_EEvS5_RKT_EUlibE0_EEviT1_,comdat
	.globl	_ZN2at6native32elementwise_kernel_manual_unrollILi128ELi4EZNS0_15gpu_kernel_implIZZZNS0_12_GLOBAL__N_121bessel_y0_kernel_cudaERNS_18TensorIteratorBaseEENKUlvE_clEvENKUlvE_clEvEUldE_EEvS5_RKT_EUlibE0_EEviT1_ ; -- Begin function _ZN2at6native32elementwise_kernel_manual_unrollILi128ELi4EZNS0_15gpu_kernel_implIZZZNS0_12_GLOBAL__N_121bessel_y0_kernel_cudaERNS_18TensorIteratorBaseEENKUlvE_clEvENKUlvE_clEvEUldE_EEvS5_RKT_EUlibE0_EEviT1_
	.p2align	8
	.type	_ZN2at6native32elementwise_kernel_manual_unrollILi128ELi4EZNS0_15gpu_kernel_implIZZZNS0_12_GLOBAL__N_121bessel_y0_kernel_cudaERNS_18TensorIteratorBaseEENKUlvE_clEvENKUlvE_clEvEUldE_EEvS5_RKT_EUlibE0_EEviT1_,@function
_ZN2at6native32elementwise_kernel_manual_unrollILi128ELi4EZNS0_15gpu_kernel_implIZZZNS0_12_GLOBAL__N_121bessel_y0_kernel_cudaERNS_18TensorIteratorBaseEENKUlvE_clEvENKUlvE_clEvEUldE_EEvS5_RKT_EUlibE0_EEviT1_: ; @_ZN2at6native32elementwise_kernel_manual_unrollILi128ELi4EZNS0_15gpu_kernel_implIZZZNS0_12_GLOBAL__N_121bessel_y0_kernel_cudaERNS_18TensorIteratorBaseEENKUlvE_clEvENKUlvE_clEvEUldE_EEvS5_RKT_EUlibE0_EEviT1_
; %bb.0:
	s_load_dword s86, s[4:5], 0x0
	s_load_dword s33, s[4:5], 0x8
	s_add_u32 s0, s0, s7
	s_addc_u32 s1, s1, 0
	s_mov_b64 s[34:35], s[4:5]
	s_add_u32 s58, s34, 8
	s_addc_u32 s59, s35, 0
	v_lshl_or_b32 v41, s6, 9, v0
	s_waitcnt lgkmcnt(0)
	s_add_i32 s88, s33, -1
	v_or_b32_e32 v6, 0x180, v41
	s_cmp_gt_u32 s88, 1
	v_cmp_le_i32_e32 vcc, s86, v6
	s_cselect_b64 s[62:63], -1, 0
	s_mov_b64 s[60:61], 0
	s_mov_b64 s[48:49], 0
	s_movk_i32 s32, 0x1800
	s_and_saveexec_b64 s[4:5], vcc
	s_xor_b64 s[64:65], exec, s[4:5]
	s_cbranch_execz .LBB11_570
; %bb.1:
	v_mov_b32_e32 v0, 0
	global_load_ushort v0, v0, s[58:59] offset:345
	s_load_dwordx4 s[52:55], s[58:59], 0x4
	s_load_dwordx2 s[66:67], s[58:59], 0x14
	s_load_dwordx4 s[48:51], s[58:59], 0xc4
	s_load_dwordx4 s[36:39], s[58:59], 0x148
	s_cmp_lg_u32 s33, 0
	s_cselect_b64 s[72:73], -1, 0
	s_add_u32 s70, s58, 0xc4
	s_addc_u32 s71, s59, 0
	s_min_u32 s90, s88, 15
	v_mov_b32_e32 v1, 8
	s_cmp_gt_u32 s33, 1
	v_cmp_gt_i32_e32 vcc, s86, v41
	s_mov_b64 s[4:5], -1
	s_mov_b64 s[80:81], 0
	s_cselect_b64 s[68:69], -1, 0
	s_mov_b64 s[74:75], 0
	s_waitcnt vmcnt(0)
	v_readfirstlane_b32 s89, v0
	v_lshrrev_b32_sdwa v40, v1, v0 dst_sel:DWORD dst_unused:UNUSED_PAD src0_sel:DWORD src1_sel:WORD_0
	s_and_saveexec_b64 s[76:77], vcc
                                        ; implicit-def: $vgpr2_vgpr3
	s_cbranch_execz .LBB11_138
; %bb.2:
	s_andn2_b64 vcc, exec, s[62:63]
	s_cbranch_vccnz .LBB11_7
; %bb.3:
	s_andn2_b64 vcc, exec, s[72:73]
	s_cbranch_vccnz .LBB11_8
; %bb.4:
	s_add_i32 s29, s90, 1
	s_cmp_eq_u32 s88, 2
	s_cbranch_scc1 .LBB11_9
; %bb.5:
	s_and_b32 s28, s29, 28
	v_mov_b32_e32 v2, 0
	s_mov_b32 s30, 0
	s_mov_b64 s[24:25], s[58:59]
	s_mov_b64 s[26:27], s[70:71]
	v_mov_b32_e32 v62, 0
	v_mov_b32_e32 v0, v41
.LBB11_6:                               ; =>This Inner Loop Header: Depth=1
	s_load_dwordx8 s[12:19], s[24:25], 0x4
	s_load_dwordx4 s[20:23], s[24:25], 0x24
	s_load_dwordx8 s[4:11], s[26:27], 0x0
	s_add_u32 s24, s24, 48
	s_addc_u32 s25, s25, 0
	s_waitcnt lgkmcnt(0)
	v_mul_hi_u32 v1, s13, v0
	s_add_i32 s30, s30, 4
	s_add_u32 s26, s26, 32
	s_addc_u32 s27, s27, 0
	v_add_u32_e32 v1, v0, v1
	v_lshrrev_b32_e32 v1, s14, v1
	v_mul_lo_u32 v3, v1, s12
	v_mul_hi_u32 v4, s16, v1
	s_cmp_lg_u32 s28, s30
	v_sub_u32_e32 v0, v0, v3
	v_add_u32_e32 v3, v1, v4
	v_mul_lo_u32 v4, v0, s4
	v_mul_lo_u32 v5, v0, s5
	v_lshrrev_b32_e32 v0, s17, v3
	v_mul_lo_u32 v3, v0, s15
	v_mul_hi_u32 v6, s19, v0
	v_sub_u32_e32 v1, v1, v3
	v_add_u32_e32 v3, v0, v6
	v_lshrrev_b32_e32 v3, s20, v3
	v_mul_hi_u32 v7, s22, v3
	v_mul_lo_u32 v8, v3, s18
	v_mul_lo_u32 v6, v1, s6
	;; [unrolled: 1-line block ×3, first 2 shown]
	v_sub_u32_e32 v8, v0, v8
	v_add_u32_e32 v0, v3, v7
	v_lshrrev_b32_e32 v0, s23, v0
	v_mul_lo_u32 v7, v0, s21
	v_mul_lo_u32 v9, v8, s8
	;; [unrolled: 1-line block ×3, first 2 shown]
	v_add3_u32 v4, v4, v62, v6
	v_sub_u32_e32 v3, v3, v7
	v_mul_lo_u32 v7, v3, s10
	v_mul_lo_u32 v3, v3, s11
	v_add3_u32 v1, v5, v2, v1
	v_add3_u32 v62, v9, v4, v7
	;; [unrolled: 1-line block ×3, first 2 shown]
	s_cbranch_scc1 .LBB11_6
	s_branch .LBB11_10
.LBB11_7:
                                        ; implicit-def: $vgpr62
                                        ; implicit-def: $vgpr2
	s_andn2_b64 vcc, exec, s[4:5]
	s_cbranch_vccz .LBB11_14
	s_branch .LBB11_16
.LBB11_8:
	v_mov_b32_e32 v62, 0
	v_mov_b32_e32 v2, 0
	s_branch .LBB11_13
.LBB11_9:
	s_mov_b32 s28, 0
	v_mov_b32_e32 v62, 0
	v_mov_b32_e32 v2, 0
	;; [unrolled: 1-line block ×3, first 2 shown]
.LBB11_10:
	s_and_b32 s8, s29, 3
	s_cmp_eq_u32 s8, 0
	s_cbranch_scc1 .LBB11_13
; %bb.11:
	s_lshl_b32 s4, s28, 3
	s_add_u32 s4, s58, s4
	s_addc_u32 s5, s59, 0
	s_add_u32 s4, s4, 0xc4
	s_addc_u32 s5, s5, 0
	s_mul_i32 s6, s28, 12
	s_add_u32 s6, s58, s6
	s_addc_u32 s7, s59, 0
.LBB11_12:                              ; =>This Inner Loop Header: Depth=1
	s_load_dwordx2 s[10:11], s[6:7], 0x4
	s_load_dword s9, s[6:7], 0xc
	s_load_dwordx2 s[12:13], s[4:5], 0x0
	s_add_u32 s6, s6, 12
	s_addc_u32 s7, s7, 0
	s_waitcnt lgkmcnt(0)
	v_mul_hi_u32 v1, s11, v0
	s_add_u32 s4, s4, 8
	s_addc_u32 s5, s5, 0
	s_add_i32 s8, s8, -1
	v_add_u32_e32 v1, v0, v1
	v_lshrrev_b32_e32 v1, s9, v1
	v_mul_lo_u32 v3, v1, s10
	s_cmp_lg_u32 s8, 0
	v_sub_u32_e32 v0, v0, v3
	v_mad_u64_u32 v[62:63], s[10:11], v0, s12, v[62:63]
	v_mad_u64_u32 v[2:3], s[10:11], v0, s13, v[2:3]
	v_mov_b32_e32 v0, v1
	s_cbranch_scc1 .LBB11_12
.LBB11_13:
	s_cbranch_execnz .LBB11_16
.LBB11_14:
	s_waitcnt lgkmcnt(0)
	v_mul_hi_u32 v0, s53, v41
	s_andn2_b64 vcc, exec, s[68:69]
	v_add_u32_e32 v0, v41, v0
	v_lshrrev_b32_e32 v0, s54, v0
	v_mul_lo_u32 v1, v0, s52
	v_sub_u32_e32 v1, v41, v1
	v_mul_lo_u32 v62, v1, s48
	v_mul_lo_u32 v2, v1, s49
	s_cbranch_vccnz .LBB11_16
; %bb.15:
	v_mul_hi_u32 v1, s66, v0
	v_add_u32_e32 v1, v0, v1
	v_lshrrev_b32_e32 v1, s67, v1
	v_mul_lo_u32 v1, v1, s55
	v_sub_u32_e32 v0, v0, v1
	v_mad_u64_u32 v[62:63], s[4:5], v0, s50, v[62:63]
	v_mad_u64_u32 v[2:3], s[4:5], v0, s51, v[2:3]
.LBB11_16:
	s_getpc_b64 s[4:5]
	s_add_u32 s4, s4, _ZN2at6native6invokeIZZZNS0_12_GLOBAL__N_121bessel_y0_kernel_cudaERNS_18TensorIteratorBaseEENKUlvE_clEvENKUlvE_clEvEUldE_j15function_traitsIS7_EEENT1_11result_typeERKT_PrKPcPKT0_PKN3c1010ScalarTypeEi@rel32@lo+4
	s_addc_u32 s5, s5, _ZN2at6native6invokeIZZZNS0_12_GLOBAL__N_121bessel_y0_kernel_cudaERNS_18TensorIteratorBaseEENKUlvE_clEvENKUlvE_clEvEUldE_j15function_traitsIS7_EEENT1_11result_typeERKT_PrKPcPKT0_PKN3c1010ScalarTypeEi@rel32@hi+12
	s_waitcnt lgkmcnt(0)
	v_mov_b32_e32 v0, s38
	v_mov_b32_e32 v1, s39
	;; [unrolled: 1-line block ×3, first 2 shown]
	s_swappc_b64 s[30:31], s[4:5]
	v_mov_b32_e32 v2, s37
	s_and_b32 s12, s89, 0xff
	v_add_co_u32_e32 v4, vcc, s36, v62
	s_cmp_lt_i32 s12, 11
	v_addc_co_u32_e32 v5, vcc, 0, v2, vcc
	s_cbranch_scc1 .LBB11_23
; %bb.17:
	s_and_b32 s13, 0xffff, s12
	s_cmp_gt_i32 s13, 25
	s_cbranch_scc0 .LBB11_26
; %bb.18:
	s_cmp_gt_i32 s13, 28
	s_cbranch_scc0 .LBB11_27
; %bb.19:
	;; [unrolled: 3-line block ×4, first 2 shown]
	s_mov_b64 s[8:9], 0
	s_mov_b64 s[4:5], -1
	s_cmp_eq_u32 s13, 46
	s_mov_b64 s[6:7], 0
	s_cbranch_scc0 .LBB11_30
; %bb.22:
	v_cvt_f32_f64_e32 v2, v[0:1]
	s_movk_i32 s4, 0x7fff
	v_mov_b32_e32 v3, 0x7fc0
	s_mov_b64 s[6:7], -1
	v_bfe_u32 v6, v2, 16, 1
	v_cmp_o_f32_e32 vcc, v2, v2
	v_add3_u32 v2, v2, v6, s4
	v_cndmask_b32_sdwa v2, v3, v2, vcc dst_sel:DWORD dst_unused:UNUSED_PAD src0_sel:DWORD src1_sel:WORD_1
	global_store_dword v[4:5], v2, off
	s_mov_b64 s[4:5], 0
	s_branch .LBB11_30
.LBB11_23:
	s_mov_b64 s[4:5], 0
	s_mov_b64 s[6:7], 0
	s_cbranch_execnz .LBB11_98
.LBB11_24:
	s_andn2_b64 vcc, exec, s[6:7]
	s_cbranch_vccnz .LBB11_136
.LBB11_25:
	v_add_u32_e32 v41, 0x80, v41
	s_mov_b64 s[6:7], -1
	s_branch .LBB11_137
.LBB11_26:
	s_mov_b64 s[4:5], 0
	s_mov_b64 s[6:7], 0
	s_cbranch_execnz .LBB11_57
	s_branch .LBB11_97
.LBB11_27:
	s_mov_b64 s[8:9], -1
	s_mov_b64 s[4:5], 0
	s_mov_b64 s[6:7], 0
	s_branch .LBB11_40
.LBB11_28:
	s_mov_b64 s[8:9], -1
	s_mov_b64 s[4:5], 0
	s_mov_b64 s[6:7], 0
	s_branch .LBB11_36
.LBB11_29:
	s_mov_b64 s[8:9], -1
	s_mov_b64 s[4:5], 0
	s_mov_b64 s[6:7], 0
.LBB11_30:
	s_and_b64 vcc, exec, s[8:9]
	s_cbranch_vccz .LBB11_35
; %bb.31:
	s_cmp_eq_u32 s13, 44
	s_mov_b64 s[4:5], -1
	s_cbranch_scc0 .LBB11_35
; %bb.32:
	v_cvt_f32_f64_e32 v2, v[0:1]
	s_movk_i32 s4, 0xff
	v_mov_b32_e32 v6, 0xff
	v_bfe_u32 v3, v2, 23, 8
	v_cmp_ne_u32_e32 vcc, s4, v3
	s_and_saveexec_b64 s[6:7], vcc
; %bb.33:
	s_mov_b32 s4, 0x3fffff
	v_lshrrev_b32_e32 v6, 23, v2
	v_and_b32_e32 v7, 0x400000, v2
	v_and_or_b32 v2, v2, s4, v3
	v_cmp_ne_u32_e32 vcc, 0, v7
	v_cmp_ne_u32_e64 s[4:5], 0, v2
	s_and_b64 s[4:5], vcc, s[4:5]
	v_cndmask_b32_e64 v2, 0, 1, s[4:5]
	v_add_u32_e32 v6, v6, v2
; %bb.34:
	s_or_b64 exec, exec, s[6:7]
	s_mov_b64 s[6:7], -1
	s_mov_b64 s[4:5], 0
	global_store_byte v[4:5], v6, off
.LBB11_35:
	s_mov_b64 s[8:9], 0
.LBB11_36:
	s_and_b64 vcc, exec, s[8:9]
	s_cbranch_vccz .LBB11_39
; %bb.37:
	s_cmp_eq_u32 s13, 29
	s_mov_b64 s[4:5], -1
	s_cbranch_scc0 .LBB11_39
; %bb.38:
	v_trunc_f64_e32 v[2:3], v[0:1]
	s_movk_i32 s4, 0xffe0
	s_mov_b64 s[6:7], -1
	s_mov_b64 s[8:9], 0
	v_ldexp_f64 v[6:7], v[2:3], s4
	s_mov_b32 s4, 0
	s_mov_b32 s5, 0xc1f00000
	v_floor_f64_e32 v[6:7], v[6:7]
	v_fma_f64 v[2:3], v[6:7], s[4:5], v[2:3]
	v_cvt_u32_f64_e32 v7, v[6:7]
	s_mov_b64 s[4:5], 0
	v_cvt_u32_f64_e32 v6, v[2:3]
	global_store_dwordx2 v[4:5], v[6:7], off
	s_branch .LBB11_40
.LBB11_39:
	s_mov_b64 s[8:9], 0
.LBB11_40:
	s_and_b64 vcc, exec, s[8:9]
	s_cbranch_vccz .LBB11_56
; %bb.41:
	s_cmp_lt_i32 s13, 27
	s_mov_b64 s[6:7], -1
	s_cbranch_scc1 .LBB11_47
; %bb.42:
	s_cmp_gt_i32 s13, 27
	s_cbranch_scc0 .LBB11_44
; %bb.43:
	v_cvt_u32_f64_e32 v2, v[0:1]
	s_mov_b64 s[6:7], 0
	global_store_dword v[4:5], v2, off
.LBB11_44:
	s_andn2_b64 vcc, exec, s[6:7]
	s_cbranch_vccnz .LBB11_46
; %bb.45:
	v_cvt_u32_f64_e32 v2, v[0:1]
	global_store_short v[4:5], v2, off
.LBB11_46:
	s_mov_b64 s[6:7], 0
.LBB11_47:
	s_andn2_b64 vcc, exec, s[6:7]
	s_cbranch_vccnz .LBB11_55
; %bb.48:
	v_cvt_f32_f64_e32 v2, v[0:1]
	s_mov_b32 s6, 0x43800000
	v_mov_b32_e32 v6, 0x80
	v_and_b32_e32 v3, 0x7fffffff, v2
	v_cmp_gt_u32_e32 vcc, s6, v3
	s_and_saveexec_b64 s[6:7], vcc
	s_cbranch_execz .LBB11_54
; %bb.49:
	s_mov_b32 s8, 0x3bffffff
	v_cmp_lt_u32_e32 vcc, s8, v3
	s_mov_b64 s[8:9], 0
                                        ; implicit-def: $vgpr3
	s_and_saveexec_b64 s[10:11], vcc
	s_xor_b64 s[10:11], exec, s[10:11]
	s_cbranch_execz .LBB11_169
; %bb.50:
	v_bfe_u32 v3, v2, 20, 1
	s_mov_b32 s14, 0x487ffff
	v_add3_u32 v3, v2, v3, s14
	s_mov_b64 s[8:9], exec
	v_lshrrev_b32_e32 v3, 20, v3
	s_andn2_saveexec_b64 s[10:11], s[10:11]
	s_cbranch_execnz .LBB11_170
.LBB11_51:
	s_or_b64 exec, exec, s[10:11]
	v_mov_b32_e32 v6, 0
	s_and_saveexec_b64 s[10:11], s[8:9]
.LBB11_52:
	v_lshrrev_b32_e32 v2, 24, v2
	s_movk_i32 s8, 0x80
	v_and_or_b32 v6, v2, s8, v3
.LBB11_53:
	s_or_b64 exec, exec, s[10:11]
.LBB11_54:
	s_or_b64 exec, exec, s[6:7]
	global_store_byte v[4:5], v6, off
.LBB11_55:
	s_mov_b64 s[6:7], -1
.LBB11_56:
	s_branch .LBB11_97
.LBB11_57:
	s_cmp_gt_i32 s13, 22
	s_mov_b64 s[8:9], -1
	s_cbranch_scc0 .LBB11_89
; %bb.58:
	s_cmp_lt_i32 s13, 24
	s_mov_b64 s[6:7], -1
	s_cbranch_scc1 .LBB11_78
; %bb.59:
	s_cmp_gt_i32 s13, 24
	s_cbranch_scc0 .LBB11_67
; %bb.60:
	v_cvt_f32_f64_e32 v2, v[0:1]
	s_mov_b32 s6, 0x47800000
	v_mov_b32_e32 v6, 0x80
	v_and_b32_e32 v3, 0x7fffffff, v2
	v_cmp_gt_u32_e32 vcc, s6, v3
	s_and_saveexec_b64 s[6:7], vcc
	s_cbranch_execz .LBB11_66
; %bb.61:
	s_mov_b32 s8, 0x37ffffff
	v_cmp_lt_u32_e32 vcc, s8, v3
	s_mov_b64 s[8:9], 0
                                        ; implicit-def: $vgpr3
	s_and_saveexec_b64 s[10:11], vcc
	s_xor_b64 s[10:11], exec, s[10:11]
	s_cbranch_execz .LBB11_172
; %bb.62:
	v_bfe_u32 v3, v2, 21, 1
	s_mov_b32 s14, 0x88fffff
	v_add3_u32 v3, v2, v3, s14
	s_mov_b64 s[8:9], exec
	v_lshrrev_b32_e32 v3, 21, v3
	s_andn2_saveexec_b64 s[10:11], s[10:11]
	s_cbranch_execnz .LBB11_173
.LBB11_63:
	s_or_b64 exec, exec, s[10:11]
	v_mov_b32_e32 v6, 0
	s_and_saveexec_b64 s[10:11], s[8:9]
.LBB11_64:
	v_lshrrev_b32_e32 v2, 24, v2
	s_movk_i32 s8, 0x80
	v_and_or_b32 v6, v2, s8, v3
.LBB11_65:
	s_or_b64 exec, exec, s[10:11]
.LBB11_66:
	s_or_b64 exec, exec, s[6:7]
	s_mov_b64 s[6:7], 0
	global_store_byte v[4:5], v6, off
.LBB11_67:
	s_and_b64 vcc, exec, s[6:7]
	s_cbranch_vccz .LBB11_77
; %bb.68:
	v_cvt_f32_f64_e32 v2, v[0:1]
	s_mov_b32 s6, 0x43f00000
                                        ; implicit-def: $vgpr3
	v_and_b32_e32 v6, 0x7fffffff, v2
	v_cmp_gt_u32_e32 vcc, s6, v6
	s_and_saveexec_b64 s[6:7], vcc
	s_xor_b64 s[6:7], exec, s[6:7]
	s_cbranch_execz .LBB11_74
; %bb.69:
	s_mov_b32 s8, 0x3c7fffff
	v_cmp_lt_u32_e32 vcc, s8, v6
                                        ; implicit-def: $vgpr3
	s_and_saveexec_b64 s[8:9], vcc
	s_xor_b64 s[8:9], exec, s[8:9]
; %bb.70:
	v_bfe_u32 v3, v2, 20, 1
	s_mov_b32 s10, 0x407ffff
	v_add3_u32 v3, v2, v3, s10
	v_lshrrev_b32_e32 v6, 20, v3
	v_and_b32_e32 v3, 0xff00000, v3
	s_mov_b32 s10, 0x7f00000
	v_mov_b32_e32 v7, 0x7e
	v_cmp_ne_u32_e32 vcc, s10, v3
	v_cndmask_b32_e32 v3, v7, v6, vcc
; %bb.71:
	s_andn2_saveexec_b64 s[8:9], s[8:9]
; %bb.72:
	s_mov_b32 s10, 0x46800000
	v_add_f32_e64 v3, |v2|, s10
; %bb.73:
	s_or_b64 exec, exec, s[8:9]
                                        ; implicit-def: $vgpr6
.LBB11_74:
	s_andn2_saveexec_b64 s[6:7], s[6:7]
; %bb.75:
	s_mov_b32 s8, 0x7f800000
	v_mov_b32_e32 v3, 0x7e
	v_mov_b32_e32 v7, 0x7f
	v_cmp_lt_u32_e32 vcc, s8, v6
	v_cndmask_b32_e32 v3, v3, v7, vcc
; %bb.76:
	s_or_b64 exec, exec, s[6:7]
	v_lshrrev_b32_e32 v2, 24, v2
	s_movk_i32 s6, 0x80
	v_and_or_b32 v2, v2, s6, v3
	global_store_byte v[4:5], v2, off
.LBB11_77:
	s_mov_b64 s[6:7], 0
.LBB11_78:
	s_andn2_b64 vcc, exec, s[6:7]
	s_cbranch_vccnz .LBB11_88
; %bb.79:
	v_cvt_f32_f64_e32 v2, v[0:1]
	s_mov_b32 s6, 0x47800000
                                        ; implicit-def: $vgpr3
	v_and_b32_e32 v6, 0x7fffffff, v2
	v_cmp_gt_u32_e32 vcc, s6, v6
	s_and_saveexec_b64 s[6:7], vcc
	s_xor_b64 s[6:7], exec, s[6:7]
	s_cbranch_execz .LBB11_85
; %bb.80:
	s_mov_b32 s8, 0x387fffff
	v_cmp_lt_u32_e32 vcc, s8, v6
                                        ; implicit-def: $vgpr3
	s_and_saveexec_b64 s[8:9], vcc
	s_xor_b64 s[8:9], exec, s[8:9]
; %bb.81:
	v_bfe_u32 v3, v2, 21, 1
	s_mov_b32 s10, 0x80fffff
	v_add3_u32 v3, v2, v3, s10
	v_lshrrev_b32_e32 v3, 21, v3
; %bb.82:
	s_andn2_saveexec_b64 s[8:9], s[8:9]
; %bb.83:
	s_mov_b32 s10, 0x43000000
	v_add_f32_e64 v3, |v2|, s10
; %bb.84:
	s_or_b64 exec, exec, s[8:9]
                                        ; implicit-def: $vgpr6
.LBB11_85:
	s_andn2_saveexec_b64 s[6:7], s[6:7]
; %bb.86:
	s_mov_b32 s8, 0x7f800000
	v_mov_b32_e32 v3, 0x7c
	v_mov_b32_e32 v7, 0x7f
	v_cmp_lt_u32_e32 vcc, s8, v6
	v_cndmask_b32_e32 v3, v3, v7, vcc
; %bb.87:
	s_or_b64 exec, exec, s[6:7]
	v_lshrrev_b32_e32 v2, 24, v2
	s_movk_i32 s6, 0x80
	v_and_or_b32 v2, v2, s6, v3
	global_store_byte v[4:5], v2, off
.LBB11_88:
	s_mov_b64 s[8:9], 0
	s_mov_b64 s[6:7], -1
.LBB11_89:
	s_andn2_b64 vcc, exec, s[8:9]
	s_cbranch_vccnz .LBB11_97
; %bb.90:
	s_cmp_gt_i32 s13, 14
	s_mov_b64 s[8:9], -1
	s_cbranch_scc0 .LBB11_94
; %bb.91:
	s_cmp_eq_u32 s13, 15
	s_mov_b64 s[4:5], -1
	s_cbranch_scc0 .LBB11_93
; %bb.92:
	v_cvt_f32_f64_e32 v2, v[0:1]
	s_movk_i32 s4, 0x7fff
	v_mov_b32_e32 v3, 0x7fc0
	s_mov_b64 s[6:7], -1
	v_bfe_u32 v6, v2, 16, 1
	v_cmp_o_f32_e32 vcc, v2, v2
	v_add3_u32 v2, v2, v6, s4
	v_cndmask_b32_sdwa v2, v3, v2, vcc dst_sel:DWORD dst_unused:UNUSED_PAD src0_sel:DWORD src1_sel:WORD_1
	global_store_short v[4:5], v2, off
	s_mov_b64 s[4:5], 0
.LBB11_93:
	s_mov_b64 s[8:9], 0
.LBB11_94:
	s_and_b64 vcc, exec, s[8:9]
	s_cbranch_vccz .LBB11_97
; %bb.95:
	s_cmp_eq_u32 s13, 11
	s_mov_b64 s[4:5], -1
	s_cbranch_scc0 .LBB11_97
; %bb.96:
	v_cmp_neq_f64_e32 vcc, 0, v[0:1]
	s_mov_b64 s[4:5], 0
	s_mov_b64 s[6:7], -1
	v_cndmask_b32_e64 v2, 0, 1, vcc
	global_store_byte v[4:5], v2, off
.LBB11_97:
	s_branch .LBB11_24
.LBB11_98:
	s_and_b32 s8, 0xffff, s12
	s_cmp_lt_i32 s8, 5
	s_mov_b64 s[6:7], -1
	s_cbranch_scc1 .LBB11_119
; %bb.99:
	s_cmp_lt_i32 s8, 8
	s_cbranch_scc1 .LBB11_109
; %bb.100:
	s_cmp_lt_i32 s8, 9
	s_cbranch_scc1 .LBB11_106
; %bb.101:
	s_cmp_gt_i32 s8, 9
	s_cbranch_scc0 .LBB11_103
; %bb.102:
	v_mov_b32_e32 v2, 0
	v_mov_b32_e32 v3, v2
	global_store_dwordx4 v[4:5], v[0:3], off
	s_mov_b64 s[6:7], 0
.LBB11_103:
	s_andn2_b64 vcc, exec, s[6:7]
	s_cbranch_vccnz .LBB11_105
; %bb.104:
	v_cvt_f32_f64_e32 v2, v[0:1]
	v_mov_b32_e32 v3, 0
	global_store_dwordx2 v[4:5], v[2:3], off
.LBB11_105:
	s_mov_b64 s[6:7], 0
.LBB11_106:
	s_andn2_b64 vcc, exec, s[6:7]
	s_cbranch_vccnz .LBB11_108
; %bb.107:
	s_movk_i32 s6, 0x1ff
	v_and_or_b32 v2, v1, s6, v0
	v_cmp_ne_u32_e32 vcc, 0, v2
	v_cndmask_b32_e64 v2, 0, 1, vcc
	v_lshrrev_b32_e32 v3, 8, v1
	s_movk_i32 s6, 0xffe
	v_bfe_u32 v6, v1, 20, 11
	v_and_or_b32 v2, v3, s6, v2
	v_sub_u32_e32 v7, 0x3f1, v6
	v_or_b32_e32 v3, 0x1000, v2
	v_med3_i32 v7, v7, 0, 13
	v_lshrrev_b32_e32 v8, v7, v3
	v_lshlrev_b32_e32 v7, v7, v8
	v_cmp_ne_u32_e32 vcc, v7, v3
	v_cndmask_b32_e64 v3, 0, 1, vcc
	v_add_u32_e32 v6, 0xfffffc10, v6
	v_or_b32_e32 v3, v8, v3
	v_lshl_or_b32 v7, v6, 12, v2
	v_cmp_gt_i32_e32 vcc, 1, v6
	v_cndmask_b32_e32 v3, v7, v3, vcc
	v_and_b32_e32 v7, 7, v3
	v_cmp_lt_i32_e32 vcc, 5, v7
	v_cndmask_b32_e64 v8, 0, 1, vcc
	v_cmp_eq_u32_e32 vcc, 3, v7
	v_cndmask_b32_e64 v7, 0, 1, vcc
	v_or_b32_e32 v7, v7, v8
	v_lshrrev_b32_e32 v3, 2, v3
	v_add_u32_e32 v3, v3, v7
	v_mov_b32_e32 v7, 0x7c00
	v_cmp_gt_i32_e32 vcc, 31, v6
	v_cndmask_b32_e32 v3, v7, v3, vcc
	v_mov_b32_e32 v8, 0x7e00
	v_cmp_ne_u32_e32 vcc, 0, v2
	s_movk_i32 s6, 0x40f
	v_cndmask_b32_e32 v2, v7, v8, vcc
	v_cmp_eq_u32_e32 vcc, s6, v6
	v_cndmask_b32_e32 v2, v3, v2, vcc
	v_lshrrev_b32_e32 v3, 16, v1
	s_mov_b32 s6, 0x8000
	v_and_or_b32 v2, v3, s6, v2
	v_and_b32_e32 v2, 0xffff, v2
	global_store_dword v[4:5], v2, off
.LBB11_108:
	s_mov_b64 s[6:7], 0
.LBB11_109:
	s_andn2_b64 vcc, exec, s[6:7]
	s_cbranch_vccnz .LBB11_118
; %bb.110:
	s_cmp_lt_i32 s8, 6
	s_mov_b64 s[6:7], -1
	s_cbranch_scc1 .LBB11_116
; %bb.111:
	s_cmp_gt_i32 s8, 6
	s_cbranch_scc0 .LBB11_113
; %bb.112:
	global_store_dwordx2 v[4:5], v[0:1], off
	s_mov_b64 s[6:7], 0
.LBB11_113:
	s_andn2_b64 vcc, exec, s[6:7]
	s_cbranch_vccnz .LBB11_115
; %bb.114:
	v_cvt_f32_f64_e32 v2, v[0:1]
	global_store_dword v[4:5], v2, off
.LBB11_115:
	s_mov_b64 s[6:7], 0
.LBB11_116:
	s_andn2_b64 vcc, exec, s[6:7]
	s_cbranch_vccnz .LBB11_118
; %bb.117:
	s_movk_i32 s6, 0x1ff
	v_and_or_b32 v2, v1, s6, v0
	v_cmp_ne_u32_e32 vcc, 0, v2
	v_cndmask_b32_e64 v2, 0, 1, vcc
	v_lshrrev_b32_e32 v3, 8, v1
	s_movk_i32 s6, 0xffe
	v_bfe_u32 v6, v1, 20, 11
	v_and_or_b32 v2, v3, s6, v2
	v_sub_u32_e32 v7, 0x3f1, v6
	v_or_b32_e32 v3, 0x1000, v2
	v_med3_i32 v7, v7, 0, 13
	v_lshrrev_b32_e32 v8, v7, v3
	v_lshlrev_b32_e32 v7, v7, v8
	v_cmp_ne_u32_e32 vcc, v7, v3
	v_cndmask_b32_e64 v3, 0, 1, vcc
	v_add_u32_e32 v6, 0xfffffc10, v6
	v_or_b32_e32 v3, v8, v3
	v_lshl_or_b32 v7, v6, 12, v2
	v_cmp_gt_i32_e32 vcc, 1, v6
	v_cndmask_b32_e32 v3, v7, v3, vcc
	v_and_b32_e32 v7, 7, v3
	v_cmp_lt_i32_e32 vcc, 5, v7
	v_cndmask_b32_e64 v8, 0, 1, vcc
	v_cmp_eq_u32_e32 vcc, 3, v7
	v_cndmask_b32_e64 v7, 0, 1, vcc
	v_or_b32_e32 v7, v7, v8
	v_lshrrev_b32_e32 v3, 2, v3
	v_add_u32_e32 v3, v3, v7
	v_mov_b32_e32 v7, 0x7c00
	v_cmp_gt_i32_e32 vcc, 31, v6
	v_cndmask_b32_e32 v3, v7, v3, vcc
	v_mov_b32_e32 v8, 0x7e00
	v_cmp_ne_u32_e32 vcc, 0, v2
	s_movk_i32 s6, 0x40f
	v_cndmask_b32_e32 v2, v7, v8, vcc
	v_cmp_eq_u32_e32 vcc, s6, v6
	v_cndmask_b32_e32 v2, v3, v2, vcc
	v_lshrrev_b32_e32 v3, 16, v1
	s_mov_b32 s6, 0x8000
	v_and_or_b32 v2, v3, s6, v2
	global_store_short v[4:5], v2, off
.LBB11_118:
	s_mov_b64 s[6:7], 0
.LBB11_119:
	s_andn2_b64 vcc, exec, s[6:7]
	s_cbranch_vccnz .LBB11_135
; %bb.120:
	s_cmp_lt_i32 s8, 2
	s_mov_b64 s[6:7], -1
	s_cbranch_scc1 .LBB11_130
; %bb.121:
	s_cmp_lt_i32 s8, 3
	s_cbranch_scc1 .LBB11_127
; %bb.122:
	s_cmp_gt_i32 s8, 3
	s_cbranch_scc0 .LBB11_124
; %bb.123:
	v_trunc_f64_e32 v[2:3], v[0:1]
	s_movk_i32 s6, 0xffe0
	v_ldexp_f64 v[6:7], v[2:3], s6
	s_mov_b32 s6, 0
	s_mov_b32 s7, 0xc1f00000
	v_floor_f64_e32 v[6:7], v[6:7]
	v_fma_f64 v[2:3], v[6:7], s[6:7], v[2:3]
	v_cvt_i32_f64_e32 v7, v[6:7]
	s_mov_b64 s[6:7], 0
	v_cvt_u32_f64_e32 v6, v[2:3]
	global_store_dwordx2 v[4:5], v[6:7], off
.LBB11_124:
	s_andn2_b64 vcc, exec, s[6:7]
	s_cbranch_vccnz .LBB11_126
; %bb.125:
	v_cvt_i32_f64_e32 v2, v[0:1]
	global_store_dword v[4:5], v2, off
.LBB11_126:
	s_mov_b64 s[6:7], 0
.LBB11_127:
	s_andn2_b64 vcc, exec, s[6:7]
	s_cbranch_vccnz .LBB11_129
; %bb.128:
	v_cvt_i32_f64_e32 v2, v[0:1]
	global_store_short v[4:5], v2, off
.LBB11_129:
	s_mov_b64 s[6:7], 0
.LBB11_130:
	s_andn2_b64 vcc, exec, s[6:7]
	s_cbranch_vccnz .LBB11_135
; %bb.131:
	s_cmp_gt_i32 s8, 0
	s_mov_b64 s[6:7], -1
	s_cbranch_scc0 .LBB11_133
; %bb.132:
	v_cvt_i32_f64_e32 v2, v[0:1]
	s_mov_b64 s[6:7], 0
	global_store_byte v[4:5], v2, off
.LBB11_133:
	s_andn2_b64 vcc, exec, s[6:7]
	s_cbranch_vccnz .LBB11_135
; %bb.134:
	v_trunc_f64_e32 v[0:1], v[0:1]
	s_movk_i32 s6, 0xffe0
	v_ldexp_f64 v[2:3], v[0:1], s6
	s_mov_b32 s6, 0
	s_mov_b32 s7, 0xc1f00000
	v_floor_f64_e32 v[2:3], v[2:3]
	v_fma_f64 v[0:1], v[2:3], s[6:7], v[0:1]
	v_cvt_u32_f64_e32 v0, v[0:1]
	global_store_byte v[4:5], v0, off
.LBB11_135:
	s_branch .LBB11_25
.LBB11_136:
	s_mov_b64 s[6:7], 0
                                        ; implicit-def: $vgpr41
.LBB11_137:
	s_and_b64 s[74:75], s[4:5], exec
	s_orn2_b64 s[4:5], s[6:7], exec
.LBB11_138:
	s_or_b64 exec, exec, s[76:77]
	s_mov_b64 s[6:7], 0
                                        ; implicit-def: $sgpr14
                                        ; implicit-def: $vgpr4_vgpr5
                                        ; implicit-def: $vgpr0_vgpr1
	s_and_saveexec_b64 s[76:77], s[4:5]
	s_cbranch_execz .LBB11_145
; %bb.139:
	v_cmp_gt_i32_e32 vcc, s86, v41
	s_mov_b64 s[8:9], -1
	s_mov_b64 s[78:79], s[74:75]
	s_and_saveexec_b64 s[80:81], vcc
	s_cbranch_execz .LBB11_284
; %bb.140:
	s_andn2_b64 vcc, exec, s[62:63]
	s_cbranch_vccnz .LBB11_148
; %bb.141:
	s_andn2_b64 vcc, exec, s[72:73]
	s_cbranch_vccnz .LBB11_149
; %bb.142:
	s_add_i32 s29, s90, 1
	s_cmp_eq_u32 s88, 2
	s_cbranch_scc1 .LBB11_150
; %bb.143:
	s_and_b32 s28, s29, 28
	v_mov_b32_e32 v2, 0
	s_mov_b32 s30, 0
	s_mov_b64 s[24:25], s[58:59]
	s_mov_b64 s[26:27], s[70:71]
	v_mov_b32_e32 v62, 0
	v_mov_b32_e32 v0, v41
.LBB11_144:                             ; =>This Inner Loop Header: Depth=1
	s_load_dwordx8 s[12:19], s[24:25], 0x4
	s_load_dwordx4 s[20:23], s[24:25], 0x24
	s_load_dwordx8 s[4:11], s[26:27], 0x0
	s_add_u32 s24, s24, 48
	s_addc_u32 s25, s25, 0
	s_waitcnt lgkmcnt(0)
	v_mul_hi_u32 v1, s13, v0
	s_add_i32 s30, s30, 4
	s_add_u32 s26, s26, 32
	s_addc_u32 s27, s27, 0
	v_add_u32_e32 v1, v0, v1
	v_lshrrev_b32_e32 v1, s14, v1
	v_mul_lo_u32 v3, v1, s12
	v_mul_hi_u32 v4, s16, v1
	s_cmp_eq_u32 s28, s30
	v_sub_u32_e32 v0, v0, v3
	v_add_u32_e32 v3, v1, v4
	v_mul_lo_u32 v4, v0, s4
	v_mul_lo_u32 v5, v0, s5
	v_lshrrev_b32_e32 v0, s17, v3
	v_mul_lo_u32 v3, v0, s15
	v_mul_hi_u32 v6, s19, v0
	v_sub_u32_e32 v1, v1, v3
	v_add_u32_e32 v3, v0, v6
	v_lshrrev_b32_e32 v3, s20, v3
	v_mul_hi_u32 v7, s22, v3
	v_mul_lo_u32 v8, v3, s18
	v_mul_lo_u32 v6, v1, s6
	;; [unrolled: 1-line block ×3, first 2 shown]
	v_sub_u32_e32 v8, v0, v8
	v_add_u32_e32 v0, v3, v7
	v_lshrrev_b32_e32 v0, s23, v0
	v_mul_lo_u32 v7, v0, s21
	v_mul_lo_u32 v9, v8, s8
	v_mul_lo_u32 v8, v8, s9
	v_add3_u32 v4, v4, v62, v6
	v_sub_u32_e32 v3, v3, v7
	v_mul_lo_u32 v7, v3, s10
	v_mul_lo_u32 v3, v3, s11
	v_add3_u32 v1, v5, v2, v1
	v_add3_u32 v62, v9, v4, v7
	;; [unrolled: 1-line block ×3, first 2 shown]
	s_cbranch_scc0 .LBB11_144
	s_branch .LBB11_151
.LBB11_145:
	s_or_b64 exec, exec, s[76:77]
	s_mov_b64 s[4:5], 0
	s_and_saveexec_b64 s[8:9], s[74:75]
	s_cbranch_execnz .LBB11_530
.LBB11_146:
	s_or_b64 exec, exec, s[8:9]
	s_and_saveexec_b64 s[8:9], s[80:81]
	s_xor_b64 s[8:9], exec, s[8:9]
	s_cbranch_execz .LBB11_531
.LBB11_147:
	v_cmp_neq_f64_e32 vcc, 0, v[0:1]
	v_cndmask_b32_e64 v2, 0, 1, vcc
	global_store_byte v[4:5], v2, off
	s_or_b64 exec, exec, s[8:9]
	s_and_saveexec_b64 s[8:9], s[6:7]
	s_xor_b64 s[6:7], exec, s[8:9]
	s_cbranch_execz .LBB11_569
	s_branch .LBB11_532
.LBB11_148:
                                        ; implicit-def: $vgpr62
                                        ; implicit-def: $vgpr2
	s_branch .LBB11_155
.LBB11_149:
	v_mov_b32_e32 v62, 0
	v_mov_b32_e32 v2, 0
	s_branch .LBB11_154
.LBB11_150:
	s_mov_b32 s28, 0
	v_mov_b32_e32 v62, 0
	v_mov_b32_e32 v2, 0
	;; [unrolled: 1-line block ×3, first 2 shown]
.LBB11_151:
	s_and_b32 s8, s29, 3
	s_cmp_eq_u32 s8, 0
	s_cbranch_scc1 .LBB11_154
; %bb.152:
	s_lshl_b32 s4, s28, 3
	s_add_u32 s4, s58, s4
	s_addc_u32 s5, s59, 0
	s_add_u32 s4, s4, 0xc4
	s_addc_u32 s5, s5, 0
	s_mul_i32 s6, s28, 12
	s_add_u32 s6, s58, s6
	s_addc_u32 s7, s59, 0
.LBB11_153:                             ; =>This Inner Loop Header: Depth=1
	s_load_dwordx2 s[10:11], s[6:7], 0x4
	s_load_dword s9, s[6:7], 0xc
	s_load_dwordx2 s[12:13], s[4:5], 0x0
	s_add_u32 s6, s6, 12
	s_addc_u32 s7, s7, 0
	s_waitcnt lgkmcnt(0)
	v_mul_hi_u32 v1, s11, v0
	s_add_u32 s4, s4, 8
	s_addc_u32 s5, s5, 0
	s_add_i32 s8, s8, -1
	v_add_u32_e32 v1, v0, v1
	v_lshrrev_b32_e32 v1, s9, v1
	v_mul_lo_u32 v3, v1, s10
	s_cmp_lg_u32 s8, 0
	v_sub_u32_e32 v0, v0, v3
	v_mad_u64_u32 v[62:63], s[10:11], v0, s12, v[62:63]
	v_mad_u64_u32 v[2:3], s[10:11], v0, s13, v[2:3]
	v_mov_b32_e32 v0, v1
	s_cbranch_scc1 .LBB11_153
.LBB11_154:
	s_cbranch_execnz .LBB11_157
.LBB11_155:
	s_waitcnt lgkmcnt(0)
	v_mul_hi_u32 v0, s53, v41
	s_andn2_b64 vcc, exec, s[68:69]
	v_add_u32_e32 v0, v41, v0
	v_lshrrev_b32_e32 v0, s54, v0
	v_mul_lo_u32 v1, v0, s52
	v_sub_u32_e32 v1, v41, v1
	v_mul_lo_u32 v62, v1, s48
	v_mul_lo_u32 v2, v1, s49
	s_cbranch_vccnz .LBB11_157
; %bb.156:
	v_mul_hi_u32 v1, s66, v0
	v_add_u32_e32 v1, v0, v1
	v_lshrrev_b32_e32 v1, s67, v1
	v_mul_lo_u32 v1, v1, s55
	v_sub_u32_e32 v0, v0, v1
	v_mad_u64_u32 v[62:63], s[4:5], v0, s50, v[62:63]
	v_mad_u64_u32 v[2:3], s[4:5], v0, s51, v[2:3]
.LBB11_157:
	s_getpc_b64 s[4:5]
	s_add_u32 s4, s4, _ZN2at6native6invokeIZZZNS0_12_GLOBAL__N_121bessel_y0_kernel_cudaERNS_18TensorIteratorBaseEENKUlvE_clEvENKUlvE_clEvEUldE_j15function_traitsIS7_EEENT1_11result_typeERKT_PrKPcPKT0_PKN3c1010ScalarTypeEi@rel32@lo+4
	s_addc_u32 s5, s5, _ZN2at6native6invokeIZZZNS0_12_GLOBAL__N_121bessel_y0_kernel_cudaERNS_18TensorIteratorBaseEENKUlvE_clEvENKUlvE_clEvEUldE_j15function_traitsIS7_EEENT1_11result_typeERKT_PrKPcPKT0_PKN3c1010ScalarTypeEi@rel32@hi+12
	s_waitcnt lgkmcnt(0)
	v_mov_b32_e32 v0, s38
	v_mov_b32_e32 v1, s39
	;; [unrolled: 1-line block ×3, first 2 shown]
	s_swappc_b64 s[30:31], s[4:5]
	v_mov_b32_e32 v2, s37
	s_and_b32 s12, s89, 0xff
	v_add_co_u32_e32 v4, vcc, s36, v62
	s_cmp_lt_i32 s12, 11
	v_addc_co_u32_e32 v5, vcc, 0, v2, vcc
	s_cbranch_scc1 .LBB11_164
; %bb.158:
	s_and_b32 s13, 0xffff, s12
	s_cmp_gt_i32 s13, 25
	s_cbranch_scc0 .LBB11_167
; %bb.159:
	s_cmp_gt_i32 s13, 28
	s_cbranch_scc0 .LBB11_168
; %bb.160:
	s_cmp_gt_i32 s13, 43
	s_cbranch_scc0 .LBB11_171
; %bb.161:
	s_cmp_gt_i32 s13, 45
	s_cbranch_scc0 .LBB11_174
; %bb.162:
	s_mov_b64 s[8:9], 0
	s_mov_b64 s[4:5], -1
	s_cmp_eq_u32 s13, 46
	s_mov_b64 s[6:7], 0
	s_cbranch_scc0 .LBB11_175
; %bb.163:
	v_cvt_f32_f64_e32 v2, v[0:1]
	s_movk_i32 s4, 0x7fff
	v_mov_b32_e32 v3, 0x7fc0
	s_mov_b64 s[6:7], -1
	v_bfe_u32 v6, v2, 16, 1
	v_cmp_o_f32_e32 vcc, v2, v2
	v_add3_u32 v2, v2, v6, s4
	v_cndmask_b32_sdwa v2, v3, v2, vcc dst_sel:DWORD dst_unused:UNUSED_PAD src0_sel:DWORD src1_sel:WORD_1
	global_store_dword v[4:5], v2, off
	s_mov_b64 s[4:5], 0
	s_branch .LBB11_175
.LBB11_164:
	s_mov_b64 s[6:7], 0
	s_mov_b64 s[4:5], s[74:75]
	s_cbranch_execnz .LBB11_244
.LBB11_165:
	s_andn2_b64 vcc, exec, s[6:7]
	s_cbranch_vccnz .LBB11_282
.LBB11_166:
	v_add_u32_e32 v41, 0x80, v41
	s_mov_b64 s[6:7], -1
	s_branch .LBB11_283
.LBB11_167:
	s_mov_b64 s[8:9], -1
	s_mov_b64 s[6:7], 0
	s_mov_b64 s[4:5], s[74:75]
	s_branch .LBB11_202
.LBB11_168:
	s_mov_b64 s[8:9], -1
	s_mov_b64 s[6:7], 0
	s_mov_b64 s[4:5], s[74:75]
	s_branch .LBB11_185
.LBB11_169:
	s_andn2_saveexec_b64 s[10:11], s[10:11]
	s_cbranch_execz .LBB11_51
.LBB11_170:
	s_mov_b32 s14, 0x46000000
	v_add_f32_e64 v3, |v2|, s14
	v_and_b32_e32 v3, 0xff, v3
	v_cmp_ne_u32_e32 vcc, 0, v3
	s_andn2_b64 s[8:9], s[8:9], exec
	s_and_b64 s[14:15], vcc, exec
	s_or_b64 s[8:9], s[8:9], s[14:15]
	s_or_b64 exec, exec, s[10:11]
	v_mov_b32_e32 v6, 0
	s_and_saveexec_b64 s[10:11], s[8:9]
	s_cbranch_execnz .LBB11_52
	s_branch .LBB11_53
.LBB11_171:
	s_mov_b64 s[8:9], -1
	s_mov_b64 s[6:7], 0
	s_mov_b64 s[4:5], s[74:75]
	s_branch .LBB11_181
.LBB11_172:
	s_andn2_saveexec_b64 s[10:11], s[10:11]
	s_cbranch_execz .LBB11_63
.LBB11_173:
	s_mov_b32 s14, 0x42800000
	v_add_f32_e64 v3, |v2|, s14
	v_and_b32_e32 v3, 0xff, v3
	v_cmp_ne_u32_e32 vcc, 0, v3
	s_andn2_b64 s[8:9], s[8:9], exec
	s_and_b64 s[14:15], vcc, exec
	s_or_b64 s[8:9], s[8:9], s[14:15]
	s_or_b64 exec, exec, s[10:11]
	v_mov_b32_e32 v6, 0
	s_and_saveexec_b64 s[10:11], s[8:9]
	s_cbranch_execnz .LBB11_64
	s_branch .LBB11_65
.LBB11_174:
	s_mov_b64 s[8:9], -1
	s_mov_b64 s[6:7], 0
	s_mov_b64 s[4:5], s[74:75]
.LBB11_175:
	s_and_b64 vcc, exec, s[8:9]
	s_cbranch_vccz .LBB11_180
; %bb.176:
	s_cmp_eq_u32 s13, 44
	s_mov_b64 s[4:5], -1
	s_cbranch_scc0 .LBB11_180
; %bb.177:
	v_cvt_f32_f64_e32 v2, v[0:1]
	s_movk_i32 s4, 0xff
	v_mov_b32_e32 v6, 0xff
	v_bfe_u32 v3, v2, 23, 8
	v_cmp_ne_u32_e32 vcc, s4, v3
	s_and_saveexec_b64 s[6:7], vcc
; %bb.178:
	s_mov_b32 s4, 0x3fffff
	v_lshrrev_b32_e32 v6, 23, v2
	v_and_b32_e32 v7, 0x400000, v2
	v_and_or_b32 v2, v2, s4, v3
	v_cmp_ne_u32_e32 vcc, 0, v7
	v_cmp_ne_u32_e64 s[4:5], 0, v2
	s_and_b64 s[4:5], vcc, s[4:5]
	v_cndmask_b32_e64 v2, 0, 1, s[4:5]
	v_add_u32_e32 v6, v6, v2
; %bb.179:
	s_or_b64 exec, exec, s[6:7]
	s_mov_b64 s[6:7], -1
	s_mov_b64 s[4:5], 0
	global_store_byte v[4:5], v6, off
.LBB11_180:
	s_mov_b64 s[8:9], 0
.LBB11_181:
	s_and_b64 vcc, exec, s[8:9]
	s_cbranch_vccz .LBB11_184
; %bb.182:
	s_cmp_eq_u32 s13, 29
	s_mov_b64 s[4:5], -1
	s_cbranch_scc0 .LBB11_184
; %bb.183:
	v_trunc_f64_e32 v[2:3], v[0:1]
	s_movk_i32 s4, 0xffe0
	s_mov_b64 s[6:7], -1
	s_mov_b64 s[8:9], 0
	v_ldexp_f64 v[6:7], v[2:3], s4
	s_mov_b32 s4, 0
	s_mov_b32 s5, 0xc1f00000
	v_floor_f64_e32 v[6:7], v[6:7]
	v_fma_f64 v[2:3], v[6:7], s[4:5], v[2:3]
	v_cvt_u32_f64_e32 v7, v[6:7]
	s_mov_b64 s[4:5], 0
	v_cvt_u32_f64_e32 v6, v[2:3]
	global_store_dwordx2 v[4:5], v[6:7], off
	s_branch .LBB11_185
.LBB11_184:
	s_mov_b64 s[8:9], 0
.LBB11_185:
	s_and_b64 vcc, exec, s[8:9]
	s_cbranch_vccz .LBB11_201
; %bb.186:
	s_cmp_lt_i32 s13, 27
	s_mov_b64 s[6:7], -1
	s_cbranch_scc1 .LBB11_192
; %bb.187:
	v_cvt_u32_f64_e32 v2, v[0:1]
	s_cmp_gt_i32 s13, 27
	s_cbranch_scc0 .LBB11_189
; %bb.188:
	s_mov_b64 s[6:7], 0
	global_store_dword v[4:5], v2, off
.LBB11_189:
	s_andn2_b64 vcc, exec, s[6:7]
	s_cbranch_vccnz .LBB11_191
; %bb.190:
	global_store_short v[4:5], v2, off
.LBB11_191:
	s_mov_b64 s[6:7], 0
.LBB11_192:
	s_andn2_b64 vcc, exec, s[6:7]
	s_cbranch_vccnz .LBB11_200
; %bb.193:
	v_cvt_f32_f64_e32 v2, v[0:1]
	s_mov_b32 s6, 0x43800000
	v_mov_b32_e32 v6, 0x80
	v_and_b32_e32 v3, 0x7fffffff, v2
	v_cmp_gt_u32_e32 vcc, s6, v3
	s_and_saveexec_b64 s[6:7], vcc
	s_cbranch_execz .LBB11_199
; %bb.194:
	s_mov_b32 s8, 0x3bffffff
	v_cmp_lt_u32_e32 vcc, s8, v3
	s_mov_b64 s[8:9], 0
                                        ; implicit-def: $vgpr3
	s_and_saveexec_b64 s[10:11], vcc
	s_xor_b64 s[10:11], exec, s[10:11]
	s_cbranch_execz .LBB11_311
; %bb.195:
	v_bfe_u32 v3, v2, 20, 1
	s_mov_b32 s14, 0x487ffff
	v_add3_u32 v3, v2, v3, s14
	s_mov_b64 s[8:9], exec
	v_lshrrev_b32_e32 v3, 20, v3
	s_andn2_saveexec_b64 s[10:11], s[10:11]
	s_cbranch_execnz .LBB11_312
.LBB11_196:
	s_or_b64 exec, exec, s[10:11]
	v_mov_b32_e32 v6, 0
	s_and_saveexec_b64 s[10:11], s[8:9]
.LBB11_197:
	v_lshrrev_b32_e32 v2, 24, v2
	s_movk_i32 s8, 0x80
	v_and_or_b32 v6, v2, s8, v3
.LBB11_198:
	s_or_b64 exec, exec, s[10:11]
.LBB11_199:
	s_or_b64 exec, exec, s[6:7]
	global_store_byte v[4:5], v6, off
.LBB11_200:
	s_mov_b64 s[6:7], -1
.LBB11_201:
	s_mov_b64 s[8:9], 0
.LBB11_202:
	s_and_b64 vcc, exec, s[8:9]
	s_cbranch_vccz .LBB11_243
; %bb.203:
	s_cmp_gt_i32 s13, 22
	s_mov_b64 s[8:9], -1
	s_cbranch_scc0 .LBB11_235
; %bb.204:
	s_cmp_lt_i32 s13, 24
	s_mov_b64 s[6:7], -1
	s_cbranch_scc1 .LBB11_224
; %bb.205:
	s_cmp_gt_i32 s13, 24
	s_cbranch_scc0 .LBB11_213
; %bb.206:
	v_cvt_f32_f64_e32 v2, v[0:1]
	s_mov_b32 s6, 0x47800000
	v_mov_b32_e32 v6, 0x80
	v_and_b32_e32 v3, 0x7fffffff, v2
	v_cmp_gt_u32_e32 vcc, s6, v3
	s_and_saveexec_b64 s[6:7], vcc
	s_cbranch_execz .LBB11_212
; %bb.207:
	s_mov_b32 s8, 0x37ffffff
	v_cmp_lt_u32_e32 vcc, s8, v3
	s_mov_b64 s[8:9], 0
                                        ; implicit-def: $vgpr3
	s_and_saveexec_b64 s[10:11], vcc
	s_xor_b64 s[10:11], exec, s[10:11]
	s_cbranch_execz .LBB11_314
; %bb.208:
	v_bfe_u32 v3, v2, 21, 1
	s_mov_b32 s14, 0x88fffff
	v_add3_u32 v3, v2, v3, s14
	s_mov_b64 s[8:9], exec
	v_lshrrev_b32_e32 v3, 21, v3
	s_andn2_saveexec_b64 s[10:11], s[10:11]
	s_cbranch_execnz .LBB11_315
.LBB11_209:
	s_or_b64 exec, exec, s[10:11]
	v_mov_b32_e32 v6, 0
	s_and_saveexec_b64 s[10:11], s[8:9]
.LBB11_210:
	v_lshrrev_b32_e32 v2, 24, v2
	s_movk_i32 s8, 0x80
	v_and_or_b32 v6, v2, s8, v3
.LBB11_211:
	s_or_b64 exec, exec, s[10:11]
.LBB11_212:
	s_or_b64 exec, exec, s[6:7]
	s_mov_b64 s[6:7], 0
	global_store_byte v[4:5], v6, off
.LBB11_213:
	s_and_b64 vcc, exec, s[6:7]
	s_cbranch_vccz .LBB11_223
; %bb.214:
	v_cvt_f32_f64_e32 v2, v[0:1]
	s_mov_b32 s6, 0x43f00000
                                        ; implicit-def: $vgpr3
	v_and_b32_e32 v6, 0x7fffffff, v2
	v_cmp_gt_u32_e32 vcc, s6, v6
	s_and_saveexec_b64 s[6:7], vcc
	s_xor_b64 s[6:7], exec, s[6:7]
	s_cbranch_execz .LBB11_220
; %bb.215:
	s_mov_b32 s8, 0x3c7fffff
	v_cmp_lt_u32_e32 vcc, s8, v6
                                        ; implicit-def: $vgpr3
	s_and_saveexec_b64 s[8:9], vcc
	s_xor_b64 s[8:9], exec, s[8:9]
; %bb.216:
	v_bfe_u32 v3, v2, 20, 1
	s_mov_b32 s10, 0x407ffff
	v_add3_u32 v3, v2, v3, s10
	v_lshrrev_b32_e32 v6, 20, v3
	v_and_b32_e32 v3, 0xff00000, v3
	s_mov_b32 s10, 0x7f00000
	v_mov_b32_e32 v7, 0x7e
	v_cmp_ne_u32_e32 vcc, s10, v3
	v_cndmask_b32_e32 v3, v7, v6, vcc
; %bb.217:
	s_andn2_saveexec_b64 s[8:9], s[8:9]
; %bb.218:
	s_mov_b32 s10, 0x46800000
	v_add_f32_e64 v3, |v2|, s10
; %bb.219:
	s_or_b64 exec, exec, s[8:9]
                                        ; implicit-def: $vgpr6
.LBB11_220:
	s_andn2_saveexec_b64 s[6:7], s[6:7]
; %bb.221:
	s_mov_b32 s8, 0x7f800000
	v_mov_b32_e32 v3, 0x7e
	v_mov_b32_e32 v7, 0x7f
	v_cmp_lt_u32_e32 vcc, s8, v6
	v_cndmask_b32_e32 v3, v3, v7, vcc
; %bb.222:
	s_or_b64 exec, exec, s[6:7]
	v_lshrrev_b32_e32 v2, 24, v2
	s_movk_i32 s6, 0x80
	v_and_or_b32 v2, v2, s6, v3
	global_store_byte v[4:5], v2, off
.LBB11_223:
	s_mov_b64 s[6:7], 0
.LBB11_224:
	s_andn2_b64 vcc, exec, s[6:7]
	s_cbranch_vccnz .LBB11_234
; %bb.225:
	v_cvt_f32_f64_e32 v2, v[0:1]
	s_mov_b32 s6, 0x47800000
                                        ; implicit-def: $vgpr3
	v_and_b32_e32 v6, 0x7fffffff, v2
	v_cmp_gt_u32_e32 vcc, s6, v6
	s_and_saveexec_b64 s[6:7], vcc
	s_xor_b64 s[6:7], exec, s[6:7]
	s_cbranch_execz .LBB11_231
; %bb.226:
	s_mov_b32 s8, 0x387fffff
	v_cmp_lt_u32_e32 vcc, s8, v6
                                        ; implicit-def: $vgpr3
	s_and_saveexec_b64 s[8:9], vcc
	s_xor_b64 s[8:9], exec, s[8:9]
; %bb.227:
	v_bfe_u32 v3, v2, 21, 1
	s_mov_b32 s10, 0x80fffff
	v_add3_u32 v3, v2, v3, s10
	v_lshrrev_b32_e32 v3, 21, v3
; %bb.228:
	s_andn2_saveexec_b64 s[8:9], s[8:9]
; %bb.229:
	s_mov_b32 s10, 0x43000000
	v_add_f32_e64 v3, |v2|, s10
; %bb.230:
	s_or_b64 exec, exec, s[8:9]
                                        ; implicit-def: $vgpr6
.LBB11_231:
	s_andn2_saveexec_b64 s[6:7], s[6:7]
; %bb.232:
	s_mov_b32 s8, 0x7f800000
	v_mov_b32_e32 v3, 0x7c
	v_mov_b32_e32 v7, 0x7f
	v_cmp_lt_u32_e32 vcc, s8, v6
	v_cndmask_b32_e32 v3, v3, v7, vcc
; %bb.233:
	s_or_b64 exec, exec, s[6:7]
	v_lshrrev_b32_e32 v2, 24, v2
	s_movk_i32 s6, 0x80
	v_and_or_b32 v2, v2, s6, v3
	global_store_byte v[4:5], v2, off
.LBB11_234:
	s_mov_b64 s[8:9], 0
	s_mov_b64 s[6:7], -1
.LBB11_235:
	s_andn2_b64 vcc, exec, s[8:9]
	s_cbranch_vccnz .LBB11_243
; %bb.236:
	s_cmp_gt_i32 s13, 14
	s_mov_b64 s[8:9], -1
	s_cbranch_scc0 .LBB11_240
; %bb.237:
	s_cmp_eq_u32 s13, 15
	s_mov_b64 s[4:5], -1
	s_cbranch_scc0 .LBB11_239
; %bb.238:
	v_cvt_f32_f64_e32 v2, v[0:1]
	s_movk_i32 s4, 0x7fff
	v_mov_b32_e32 v3, 0x7fc0
	s_mov_b64 s[6:7], -1
	v_bfe_u32 v6, v2, 16, 1
	v_cmp_o_f32_e32 vcc, v2, v2
	v_add3_u32 v2, v2, v6, s4
	v_cndmask_b32_sdwa v2, v3, v2, vcc dst_sel:DWORD dst_unused:UNUSED_PAD src0_sel:DWORD src1_sel:WORD_1
	global_store_short v[4:5], v2, off
	s_mov_b64 s[4:5], 0
.LBB11_239:
	s_mov_b64 s[8:9], 0
.LBB11_240:
	s_and_b64 vcc, exec, s[8:9]
	s_cbranch_vccz .LBB11_243
; %bb.241:
	s_cmp_eq_u32 s13, 11
	s_mov_b64 s[4:5], -1
	s_cbranch_scc0 .LBB11_243
; %bb.242:
	v_cmp_neq_f64_e32 vcc, 0, v[0:1]
	s_mov_b64 s[4:5], 0
	s_mov_b64 s[6:7], -1
	v_cndmask_b32_e64 v2, 0, 1, vcc
	global_store_byte v[4:5], v2, off
.LBB11_243:
	s_branch .LBB11_165
.LBB11_244:
	s_and_b32 s8, 0xffff, s12
	s_cmp_lt_i32 s8, 5
	s_mov_b64 s[6:7], -1
	s_cbranch_scc1 .LBB11_265
; %bb.245:
	s_cmp_lt_i32 s8, 8
	s_cbranch_scc1 .LBB11_255
; %bb.246:
	s_cmp_lt_i32 s8, 9
	s_cbranch_scc1 .LBB11_252
; %bb.247:
	s_cmp_gt_i32 s8, 9
	s_cbranch_scc0 .LBB11_249
; %bb.248:
	v_mov_b32_e32 v2, 0
	v_mov_b32_e32 v3, v2
	s_mov_b64 s[6:7], 0
	global_store_dwordx4 v[4:5], v[0:3], off
.LBB11_249:
	s_andn2_b64 vcc, exec, s[6:7]
	s_cbranch_vccnz .LBB11_251
; %bb.250:
	v_cvt_f32_f64_e32 v2, v[0:1]
	v_mov_b32_e32 v3, 0
	global_store_dwordx2 v[4:5], v[2:3], off
.LBB11_251:
	s_mov_b64 s[6:7], 0
.LBB11_252:
	s_andn2_b64 vcc, exec, s[6:7]
	s_cbranch_vccnz .LBB11_254
; %bb.253:
	s_movk_i32 s6, 0x1ff
	v_and_or_b32 v2, v1, s6, v0
	v_cmp_ne_u32_e32 vcc, 0, v2
	v_cndmask_b32_e64 v2, 0, 1, vcc
	v_lshrrev_b32_e32 v3, 8, v1
	s_movk_i32 s6, 0xffe
	v_bfe_u32 v6, v1, 20, 11
	v_and_or_b32 v2, v3, s6, v2
	v_sub_u32_e32 v7, 0x3f1, v6
	v_or_b32_e32 v3, 0x1000, v2
	v_med3_i32 v7, v7, 0, 13
	v_lshrrev_b32_e32 v8, v7, v3
	v_lshlrev_b32_e32 v7, v7, v8
	v_cmp_ne_u32_e32 vcc, v7, v3
	v_cndmask_b32_e64 v3, 0, 1, vcc
	v_add_u32_e32 v6, 0xfffffc10, v6
	v_or_b32_e32 v3, v8, v3
	v_lshl_or_b32 v7, v6, 12, v2
	v_cmp_gt_i32_e32 vcc, 1, v6
	v_cndmask_b32_e32 v3, v7, v3, vcc
	v_and_b32_e32 v7, 7, v3
	v_cmp_lt_i32_e32 vcc, 5, v7
	v_cndmask_b32_e64 v8, 0, 1, vcc
	v_cmp_eq_u32_e32 vcc, 3, v7
	v_cndmask_b32_e64 v7, 0, 1, vcc
	v_or_b32_e32 v7, v7, v8
	v_lshrrev_b32_e32 v3, 2, v3
	v_add_u32_e32 v3, v3, v7
	v_mov_b32_e32 v7, 0x7c00
	v_cmp_gt_i32_e32 vcc, 31, v6
	v_cndmask_b32_e32 v3, v7, v3, vcc
	v_mov_b32_e32 v8, 0x7e00
	v_cmp_ne_u32_e32 vcc, 0, v2
	s_movk_i32 s6, 0x40f
	v_cndmask_b32_e32 v2, v7, v8, vcc
	v_cmp_eq_u32_e32 vcc, s6, v6
	v_cndmask_b32_e32 v2, v3, v2, vcc
	v_lshrrev_b32_e32 v3, 16, v1
	s_mov_b32 s6, 0x8000
	v_and_or_b32 v2, v3, s6, v2
	v_and_b32_e32 v2, 0xffff, v2
	global_store_dword v[4:5], v2, off
.LBB11_254:
	s_mov_b64 s[6:7], 0
.LBB11_255:
	s_andn2_b64 vcc, exec, s[6:7]
	s_cbranch_vccnz .LBB11_264
; %bb.256:
	s_cmp_lt_i32 s8, 6
	s_mov_b64 s[6:7], -1
	s_cbranch_scc1 .LBB11_262
; %bb.257:
	s_cmp_gt_i32 s8, 6
	s_cbranch_scc0 .LBB11_259
; %bb.258:
	s_mov_b64 s[6:7], 0
	global_store_dwordx2 v[4:5], v[0:1], off
.LBB11_259:
	s_andn2_b64 vcc, exec, s[6:7]
	s_cbranch_vccnz .LBB11_261
; %bb.260:
	v_cvt_f32_f64_e32 v2, v[0:1]
	global_store_dword v[4:5], v2, off
.LBB11_261:
	s_mov_b64 s[6:7], 0
.LBB11_262:
	s_andn2_b64 vcc, exec, s[6:7]
	s_cbranch_vccnz .LBB11_264
; %bb.263:
	s_movk_i32 s6, 0x1ff
	v_and_or_b32 v2, v1, s6, v0
	v_cmp_ne_u32_e32 vcc, 0, v2
	v_cndmask_b32_e64 v2, 0, 1, vcc
	v_lshrrev_b32_e32 v3, 8, v1
	s_movk_i32 s6, 0xffe
	v_bfe_u32 v6, v1, 20, 11
	v_and_or_b32 v2, v3, s6, v2
	v_sub_u32_e32 v7, 0x3f1, v6
	v_or_b32_e32 v3, 0x1000, v2
	v_med3_i32 v7, v7, 0, 13
	v_lshrrev_b32_e32 v8, v7, v3
	v_lshlrev_b32_e32 v7, v7, v8
	v_cmp_ne_u32_e32 vcc, v7, v3
	v_cndmask_b32_e64 v3, 0, 1, vcc
	v_add_u32_e32 v6, 0xfffffc10, v6
	v_or_b32_e32 v3, v8, v3
	v_lshl_or_b32 v7, v6, 12, v2
	v_cmp_gt_i32_e32 vcc, 1, v6
	v_cndmask_b32_e32 v3, v7, v3, vcc
	v_and_b32_e32 v7, 7, v3
	v_cmp_lt_i32_e32 vcc, 5, v7
	v_cndmask_b32_e64 v8, 0, 1, vcc
	v_cmp_eq_u32_e32 vcc, 3, v7
	v_cndmask_b32_e64 v7, 0, 1, vcc
	v_or_b32_e32 v7, v7, v8
	v_lshrrev_b32_e32 v3, 2, v3
	v_add_u32_e32 v3, v3, v7
	v_mov_b32_e32 v7, 0x7c00
	v_cmp_gt_i32_e32 vcc, 31, v6
	v_cndmask_b32_e32 v3, v7, v3, vcc
	v_mov_b32_e32 v8, 0x7e00
	v_cmp_ne_u32_e32 vcc, 0, v2
	s_movk_i32 s6, 0x40f
	v_cndmask_b32_e32 v2, v7, v8, vcc
	v_cmp_eq_u32_e32 vcc, s6, v6
	v_cndmask_b32_e32 v2, v3, v2, vcc
	v_lshrrev_b32_e32 v3, 16, v1
	s_mov_b32 s6, 0x8000
	v_and_or_b32 v2, v3, s6, v2
	global_store_short v[4:5], v2, off
.LBB11_264:
	s_mov_b64 s[6:7], 0
.LBB11_265:
	s_andn2_b64 vcc, exec, s[6:7]
	s_cbranch_vccnz .LBB11_281
; %bb.266:
	s_cmp_lt_i32 s8, 2
	s_mov_b64 s[6:7], -1
	s_cbranch_scc1 .LBB11_276
; %bb.267:
	s_cmp_lt_i32 s8, 3
	s_cbranch_scc1 .LBB11_273
; %bb.268:
	s_cmp_gt_i32 s8, 3
	s_cbranch_scc0 .LBB11_270
; %bb.269:
	v_trunc_f64_e32 v[2:3], v[0:1]
	s_movk_i32 s6, 0xffe0
	v_ldexp_f64 v[6:7], v[2:3], s6
	s_mov_b32 s6, 0
	s_mov_b32 s7, 0xc1f00000
	v_floor_f64_e32 v[6:7], v[6:7]
	v_fma_f64 v[2:3], v[6:7], s[6:7], v[2:3]
	v_cvt_i32_f64_e32 v7, v[6:7]
	s_mov_b64 s[6:7], 0
	v_cvt_u32_f64_e32 v6, v[2:3]
	global_store_dwordx2 v[4:5], v[6:7], off
.LBB11_270:
	s_andn2_b64 vcc, exec, s[6:7]
	s_cbranch_vccnz .LBB11_272
; %bb.271:
	v_cvt_i32_f64_e32 v2, v[0:1]
	global_store_dword v[4:5], v2, off
.LBB11_272:
	s_mov_b64 s[6:7], 0
.LBB11_273:
	s_andn2_b64 vcc, exec, s[6:7]
	s_cbranch_vccnz .LBB11_275
; %bb.274:
	v_cvt_i32_f64_e32 v2, v[0:1]
	global_store_short v[4:5], v2, off
.LBB11_275:
	s_mov_b64 s[6:7], 0
.LBB11_276:
	s_andn2_b64 vcc, exec, s[6:7]
	s_cbranch_vccnz .LBB11_281
; %bb.277:
	s_cmp_gt_i32 s8, 0
	s_mov_b64 s[6:7], -1
	s_cbranch_scc0 .LBB11_279
; %bb.278:
	v_cvt_i32_f64_e32 v2, v[0:1]
	s_mov_b64 s[6:7], 0
	global_store_byte v[4:5], v2, off
.LBB11_279:
	s_andn2_b64 vcc, exec, s[6:7]
	s_cbranch_vccnz .LBB11_281
; %bb.280:
	v_trunc_f64_e32 v[0:1], v[0:1]
	s_movk_i32 s6, 0xffe0
	v_ldexp_f64 v[2:3], v[0:1], s6
	s_mov_b32 s6, 0
	s_mov_b32 s7, 0xc1f00000
	v_floor_f64_e32 v[2:3], v[2:3]
	v_fma_f64 v[0:1], v[2:3], s[6:7], v[0:1]
	v_cvt_u32_f64_e32 v0, v[0:1]
	global_store_byte v[4:5], v0, off
.LBB11_281:
	s_branch .LBB11_166
.LBB11_282:
	s_mov_b64 s[6:7], 0
                                        ; implicit-def: $vgpr41
.LBB11_283:
	s_andn2_b64 s[8:9], s[74:75], exec
	s_and_b64 s[4:5], s[4:5], exec
	s_or_b64 s[78:79], s[8:9], s[4:5]
	s_orn2_b64 s[8:9], s[6:7], exec
.LBB11_284:
	s_or_b64 exec, exec, s[80:81]
	s_mov_b64 s[4:5], 0
	s_mov_b64 s[6:7], 0
                                        ; implicit-def: $sgpr14
                                        ; implicit-def: $vgpr4_vgpr5
                                        ; implicit-def: $vgpr0_vgpr1
	s_and_saveexec_b64 s[80:81], s[8:9]
	s_cbranch_execz .LBB11_529
; %bb.285:
	v_cmp_gt_i32_e32 vcc, s86, v41
	s_mov_b64 s[6:7], -1
	s_mov_b64 s[84:85], s[78:79]
	s_and_saveexec_b64 s[82:83], vcc
	s_cbranch_execz .LBB11_429
; %bb.286:
	s_andn2_b64 vcc, exec, s[62:63]
	s_cbranch_vccnz .LBB11_291
; %bb.287:
	s_andn2_b64 vcc, exec, s[72:73]
	s_cbranch_vccnz .LBB11_292
; %bb.288:
	s_add_i32 s29, s90, 1
	s_cmp_eq_u32 s88, 2
	s_cbranch_scc1 .LBB11_293
; %bb.289:
	s_and_b32 s28, s29, 28
	v_mov_b32_e32 v2, 0
	s_mov_b32 s30, 0
	s_mov_b64 s[24:25], s[58:59]
	s_mov_b64 s[26:27], s[70:71]
	v_mov_b32_e32 v62, 0
	v_mov_b32_e32 v0, v41
.LBB11_290:                             ; =>This Inner Loop Header: Depth=1
	s_load_dwordx8 s[12:19], s[24:25], 0x4
	s_load_dwordx4 s[20:23], s[24:25], 0x24
	s_load_dwordx8 s[4:11], s[26:27], 0x0
	s_add_u32 s24, s24, 48
	s_addc_u32 s25, s25, 0
	s_waitcnt lgkmcnt(0)
	v_mul_hi_u32 v1, s13, v0
	s_add_i32 s30, s30, 4
	s_add_u32 s26, s26, 32
	s_addc_u32 s27, s27, 0
	v_add_u32_e32 v1, v0, v1
	v_lshrrev_b32_e32 v1, s14, v1
	v_mul_lo_u32 v3, v1, s12
	v_mul_hi_u32 v4, s16, v1
	s_cmp_eq_u32 s28, s30
	v_sub_u32_e32 v0, v0, v3
	v_add_u32_e32 v3, v1, v4
	v_mul_lo_u32 v4, v0, s4
	v_mul_lo_u32 v5, v0, s5
	v_lshrrev_b32_e32 v0, s17, v3
	v_mul_lo_u32 v3, v0, s15
	v_mul_hi_u32 v6, s19, v0
	v_sub_u32_e32 v1, v1, v3
	v_add_u32_e32 v3, v0, v6
	v_lshrrev_b32_e32 v3, s20, v3
	v_mul_hi_u32 v7, s22, v3
	v_mul_lo_u32 v8, v3, s18
	v_mul_lo_u32 v6, v1, s6
	;; [unrolled: 1-line block ×3, first 2 shown]
	v_sub_u32_e32 v8, v0, v8
	v_add_u32_e32 v0, v3, v7
	v_lshrrev_b32_e32 v0, s23, v0
	v_mul_lo_u32 v7, v0, s21
	v_mul_lo_u32 v9, v8, s8
	;; [unrolled: 1-line block ×3, first 2 shown]
	v_add3_u32 v4, v4, v62, v6
	v_sub_u32_e32 v3, v3, v7
	v_mul_lo_u32 v7, v3, s10
	v_mul_lo_u32 v3, v3, s11
	v_add3_u32 v1, v5, v2, v1
	v_add3_u32 v62, v9, v4, v7
	;; [unrolled: 1-line block ×3, first 2 shown]
	s_cbranch_scc0 .LBB11_290
	s_branch .LBB11_294
.LBB11_291:
	s_mov_b64 s[4:5], -1
                                        ; implicit-def: $vgpr62
                                        ; implicit-def: $vgpr2
	s_branch .LBB11_298
.LBB11_292:
	v_mov_b32_e32 v62, 0
	v_mov_b32_e32 v2, 0
	s_branch .LBB11_297
.LBB11_293:
	s_mov_b32 s28, 0
	v_mov_b32_e32 v62, 0
	v_mov_b32_e32 v2, 0
	;; [unrolled: 1-line block ×3, first 2 shown]
.LBB11_294:
	s_and_b32 s8, s29, 3
	s_cmp_eq_u32 s8, 0
	s_cbranch_scc1 .LBB11_297
; %bb.295:
	s_lshl_b32 s4, s28, 3
	s_add_u32 s4, s58, s4
	s_addc_u32 s5, s59, 0
	s_add_u32 s4, s4, 0xc4
	s_addc_u32 s5, s5, 0
	s_mul_i32 s6, s28, 12
	s_add_u32 s6, s58, s6
	s_addc_u32 s7, s59, 0
.LBB11_296:                             ; =>This Inner Loop Header: Depth=1
	s_load_dwordx2 s[10:11], s[6:7], 0x4
	s_load_dword s9, s[6:7], 0xc
	s_load_dwordx2 s[12:13], s[4:5], 0x0
	s_add_u32 s6, s6, 12
	s_addc_u32 s7, s7, 0
	s_waitcnt lgkmcnt(0)
	v_mul_hi_u32 v1, s11, v0
	s_add_u32 s4, s4, 8
	s_addc_u32 s5, s5, 0
	s_add_i32 s8, s8, -1
	v_add_u32_e32 v1, v0, v1
	v_lshrrev_b32_e32 v1, s9, v1
	v_mul_lo_u32 v3, v1, s10
	s_cmp_lg_u32 s8, 0
	v_sub_u32_e32 v0, v0, v3
	v_mad_u64_u32 v[62:63], s[10:11], v0, s12, v[62:63]
	v_mad_u64_u32 v[2:3], s[10:11], v0, s13, v[2:3]
	v_mov_b32_e32 v0, v1
	s_cbranch_scc1 .LBB11_296
.LBB11_297:
	s_mov_b64 s[4:5], 0
.LBB11_298:
	s_andn2_b64 vcc, exec, s[4:5]
	s_cbranch_vccnz .LBB11_301
; %bb.299:
	s_waitcnt lgkmcnt(0)
	v_mul_hi_u32 v0, s53, v41
	s_andn2_b64 vcc, exec, s[68:69]
	v_add_u32_e32 v0, v41, v0
	v_lshrrev_b32_e32 v0, s54, v0
	v_mul_lo_u32 v1, v0, s52
	v_sub_u32_e32 v1, v41, v1
	v_mul_lo_u32 v62, v1, s48
	v_mul_lo_u32 v2, v1, s49
	s_cbranch_vccnz .LBB11_301
; %bb.300:
	v_mul_hi_u32 v1, s66, v0
	v_add_u32_e32 v1, v0, v1
	v_lshrrev_b32_e32 v1, s67, v1
	v_mul_lo_u32 v1, v1, s55
	v_sub_u32_e32 v0, v0, v1
	v_mad_u64_u32 v[62:63], s[4:5], v0, s50, v[62:63]
	v_mad_u64_u32 v[2:3], s[4:5], v0, s51, v[2:3]
.LBB11_301:
	s_getpc_b64 s[4:5]
	s_add_u32 s4, s4, _ZN2at6native6invokeIZZZNS0_12_GLOBAL__N_121bessel_y0_kernel_cudaERNS_18TensorIteratorBaseEENKUlvE_clEvENKUlvE_clEvEUldE_j15function_traitsIS7_EEENT1_11result_typeERKT_PrKPcPKT0_PKN3c1010ScalarTypeEi@rel32@lo+4
	s_addc_u32 s5, s5, _ZN2at6native6invokeIZZZNS0_12_GLOBAL__N_121bessel_y0_kernel_cudaERNS_18TensorIteratorBaseEENKUlvE_clEvENKUlvE_clEvEUldE_j15function_traitsIS7_EEENT1_11result_typeERKT_PrKPcPKT0_PKN3c1010ScalarTypeEi@rel32@hi+12
	s_waitcnt lgkmcnt(0)
	v_mov_b32_e32 v0, s38
	v_mov_b32_e32 v1, s39
	;; [unrolled: 1-line block ×3, first 2 shown]
	s_swappc_b64 s[30:31], s[4:5]
	v_mov_b32_e32 v2, s37
	s_and_b32 s12, s89, 0xff
	v_add_co_u32_e32 v4, vcc, s36, v62
	s_cmp_lt_i32 s12, 11
	v_addc_co_u32_e32 v5, vcc, 0, v2, vcc
	s_cbranch_scc1 .LBB11_308
; %bb.302:
	s_and_b32 s13, 0xffff, s12
	s_cmp_gt_i32 s13, 25
	s_cbranch_scc0 .LBB11_309
; %bb.303:
	s_cmp_gt_i32 s13, 28
	s_cbranch_scc0 .LBB11_310
; %bb.304:
	;; [unrolled: 3-line block ×4, first 2 shown]
	s_mov_b64 s[8:9], 0
	s_mov_b64 s[4:5], -1
	s_cmp_eq_u32 s13, 46
	s_mov_b64 s[6:7], 0
	s_cbranch_scc0 .LBB11_317
; %bb.307:
	v_cvt_f32_f64_e32 v2, v[0:1]
	s_movk_i32 s4, 0x7fff
	v_mov_b32_e32 v3, 0x7fc0
	s_mov_b64 s[6:7], -1
	v_bfe_u32 v6, v2, 16, 1
	v_cmp_o_f32_e32 vcc, v2, v2
	v_add3_u32 v2, v2, v6, s4
	v_cndmask_b32_sdwa v2, v3, v2, vcc dst_sel:DWORD dst_unused:UNUSED_PAD src0_sel:DWORD src1_sel:WORD_1
	global_store_dword v[4:5], v2, off
	s_mov_b64 s[4:5], 0
	s_branch .LBB11_317
.LBB11_308:
	s_mov_b64 s[8:9], -1
	s_mov_b64 s[6:7], 0
	s_mov_b64 s[4:5], s[78:79]
	s_branch .LBB11_386
.LBB11_309:
	s_mov_b64 s[8:9], -1
	s_mov_b64 s[6:7], 0
	s_mov_b64 s[4:5], s[78:79]
	s_branch .LBB11_344
.LBB11_310:
	s_mov_b64 s[8:9], -1
	s_mov_b64 s[6:7], 0
	s_mov_b64 s[4:5], s[78:79]
	s_branch .LBB11_327
.LBB11_311:
	s_andn2_saveexec_b64 s[10:11], s[10:11]
	s_cbranch_execz .LBB11_196
.LBB11_312:
	s_mov_b32 s14, 0x46000000
	v_add_f32_e64 v3, |v2|, s14
	v_and_b32_e32 v3, 0xff, v3
	v_cmp_ne_u32_e32 vcc, 0, v3
	s_andn2_b64 s[8:9], s[8:9], exec
	s_and_b64 s[14:15], vcc, exec
	s_or_b64 s[8:9], s[8:9], s[14:15]
	s_or_b64 exec, exec, s[10:11]
	v_mov_b32_e32 v6, 0
	s_and_saveexec_b64 s[10:11], s[8:9]
	s_cbranch_execnz .LBB11_197
	s_branch .LBB11_198
.LBB11_313:
	s_mov_b64 s[8:9], -1
	s_mov_b64 s[6:7], 0
	s_mov_b64 s[4:5], s[78:79]
	s_branch .LBB11_323
.LBB11_314:
	s_andn2_saveexec_b64 s[10:11], s[10:11]
	s_cbranch_execz .LBB11_209
.LBB11_315:
	s_mov_b32 s14, 0x42800000
	v_add_f32_e64 v3, |v2|, s14
	v_and_b32_e32 v3, 0xff, v3
	v_cmp_ne_u32_e32 vcc, 0, v3
	s_andn2_b64 s[8:9], s[8:9], exec
	s_and_b64 s[14:15], vcc, exec
	s_or_b64 s[8:9], s[8:9], s[14:15]
	s_or_b64 exec, exec, s[10:11]
	v_mov_b32_e32 v6, 0
	s_and_saveexec_b64 s[10:11], s[8:9]
	s_cbranch_execnz .LBB11_210
	s_branch .LBB11_211
.LBB11_316:
	s_mov_b64 s[8:9], -1
	s_mov_b64 s[6:7], 0
	s_mov_b64 s[4:5], s[78:79]
.LBB11_317:
	s_and_b64 vcc, exec, s[8:9]
	s_cbranch_vccz .LBB11_322
; %bb.318:
	s_cmp_eq_u32 s13, 44
	s_mov_b64 s[4:5], -1
	s_cbranch_scc0 .LBB11_322
; %bb.319:
	v_cvt_f32_f64_e32 v2, v[0:1]
	s_movk_i32 s4, 0xff
	v_mov_b32_e32 v6, 0xff
	v_bfe_u32 v3, v2, 23, 8
	v_cmp_ne_u32_e32 vcc, s4, v3
	s_and_saveexec_b64 s[6:7], vcc
; %bb.320:
	s_mov_b32 s4, 0x3fffff
	v_lshrrev_b32_e32 v6, 23, v2
	v_and_b32_e32 v7, 0x400000, v2
	v_and_or_b32 v2, v2, s4, v3
	v_cmp_ne_u32_e32 vcc, 0, v7
	v_cmp_ne_u32_e64 s[4:5], 0, v2
	s_and_b64 s[4:5], vcc, s[4:5]
	v_cndmask_b32_e64 v2, 0, 1, s[4:5]
	v_add_u32_e32 v6, v6, v2
; %bb.321:
	s_or_b64 exec, exec, s[6:7]
	s_mov_b64 s[6:7], -1
	s_mov_b64 s[4:5], 0
	global_store_byte v[4:5], v6, off
.LBB11_322:
	s_mov_b64 s[8:9], 0
.LBB11_323:
	s_and_b64 vcc, exec, s[8:9]
	s_cbranch_vccz .LBB11_326
; %bb.324:
	s_cmp_eq_u32 s13, 29
	s_mov_b64 s[4:5], -1
	s_cbranch_scc0 .LBB11_326
; %bb.325:
	v_trunc_f64_e32 v[2:3], v[0:1]
	s_movk_i32 s4, 0xffe0
	s_mov_b64 s[6:7], -1
	s_mov_b64 s[8:9], 0
	v_ldexp_f64 v[6:7], v[2:3], s4
	s_mov_b32 s4, 0
	s_mov_b32 s5, 0xc1f00000
	v_floor_f64_e32 v[6:7], v[6:7]
	v_fma_f64 v[2:3], v[6:7], s[4:5], v[2:3]
	v_cvt_u32_f64_e32 v7, v[6:7]
	s_mov_b64 s[4:5], 0
	v_cvt_u32_f64_e32 v6, v[2:3]
	global_store_dwordx2 v[4:5], v[6:7], off
	s_branch .LBB11_327
.LBB11_326:
	s_mov_b64 s[8:9], 0
.LBB11_327:
	s_and_b64 vcc, exec, s[8:9]
	s_cbranch_vccz .LBB11_343
; %bb.328:
	s_cmp_lt_i32 s13, 27
	s_mov_b64 s[6:7], -1
	s_cbranch_scc1 .LBB11_334
; %bb.329:
	v_cvt_u32_f64_e32 v2, v[0:1]
	s_cmp_gt_i32 s13, 27
	s_cbranch_scc0 .LBB11_331
; %bb.330:
	s_mov_b64 s[6:7], 0
	global_store_dword v[4:5], v2, off
.LBB11_331:
	s_andn2_b64 vcc, exec, s[6:7]
	s_cbranch_vccnz .LBB11_333
; %bb.332:
	global_store_short v[4:5], v2, off
.LBB11_333:
	s_mov_b64 s[6:7], 0
.LBB11_334:
	s_andn2_b64 vcc, exec, s[6:7]
	s_cbranch_vccnz .LBB11_342
; %bb.335:
	v_cvt_f32_f64_e32 v2, v[0:1]
	s_mov_b32 s6, 0x43800000
	v_mov_b32_e32 v6, 0x80
	v_and_b32_e32 v3, 0x7fffffff, v2
	v_cmp_gt_u32_e32 vcc, s6, v3
	s_and_saveexec_b64 s[6:7], vcc
	s_cbranch_execz .LBB11_341
; %bb.336:
	s_mov_b32 s8, 0x3bffffff
	v_cmp_lt_u32_e32 vcc, s8, v3
	s_mov_b64 s[8:9], 0
                                        ; implicit-def: $vgpr3
	s_and_saveexec_b64 s[10:11], vcc
	s_xor_b64 s[10:11], exec, s[10:11]
	s_cbranch_execz .LBB11_454
; %bb.337:
	v_bfe_u32 v3, v2, 20, 1
	s_mov_b32 s14, 0x487ffff
	v_add3_u32 v3, v2, v3, s14
	s_mov_b64 s[8:9], exec
	v_lshrrev_b32_e32 v3, 20, v3
	s_andn2_saveexec_b64 s[10:11], s[10:11]
	s_cbranch_execnz .LBB11_455
.LBB11_338:
	s_or_b64 exec, exec, s[10:11]
	v_mov_b32_e32 v6, 0
	s_and_saveexec_b64 s[10:11], s[8:9]
.LBB11_339:
	v_lshrrev_b32_e32 v2, 24, v2
	s_movk_i32 s8, 0x80
	v_and_or_b32 v6, v2, s8, v3
.LBB11_340:
	s_or_b64 exec, exec, s[10:11]
.LBB11_341:
	s_or_b64 exec, exec, s[6:7]
	global_store_byte v[4:5], v6, off
.LBB11_342:
	s_mov_b64 s[6:7], -1
.LBB11_343:
	s_mov_b64 s[8:9], 0
.LBB11_344:
	s_and_b64 vcc, exec, s[8:9]
	s_cbranch_vccz .LBB11_385
; %bb.345:
	s_cmp_gt_i32 s13, 22
	s_mov_b64 s[8:9], -1
	s_cbranch_scc0 .LBB11_377
; %bb.346:
	s_cmp_lt_i32 s13, 24
	s_mov_b64 s[6:7], -1
	s_cbranch_scc1 .LBB11_366
; %bb.347:
	s_cmp_gt_i32 s13, 24
	s_cbranch_scc0 .LBB11_355
; %bb.348:
	v_cvt_f32_f64_e32 v2, v[0:1]
	s_mov_b32 s6, 0x47800000
	v_mov_b32_e32 v6, 0x80
	v_and_b32_e32 v3, 0x7fffffff, v2
	v_cmp_gt_u32_e32 vcc, s6, v3
	s_and_saveexec_b64 s[6:7], vcc
	s_cbranch_execz .LBB11_354
; %bb.349:
	s_mov_b32 s8, 0x37ffffff
	v_cmp_lt_u32_e32 vcc, s8, v3
	s_mov_b64 s[8:9], 0
                                        ; implicit-def: $vgpr3
	s_and_saveexec_b64 s[10:11], vcc
	s_xor_b64 s[10:11], exec, s[10:11]
	s_cbranch_execz .LBB11_456
; %bb.350:
	v_bfe_u32 v3, v2, 21, 1
	s_mov_b32 s14, 0x88fffff
	v_add3_u32 v3, v2, v3, s14
	s_mov_b64 s[8:9], exec
	v_lshrrev_b32_e32 v3, 21, v3
	s_andn2_saveexec_b64 s[10:11], s[10:11]
	s_cbranch_execnz .LBB11_457
.LBB11_351:
	s_or_b64 exec, exec, s[10:11]
	v_mov_b32_e32 v6, 0
	s_and_saveexec_b64 s[10:11], s[8:9]
.LBB11_352:
	v_lshrrev_b32_e32 v2, 24, v2
	s_movk_i32 s8, 0x80
	v_and_or_b32 v6, v2, s8, v3
.LBB11_353:
	s_or_b64 exec, exec, s[10:11]
.LBB11_354:
	s_or_b64 exec, exec, s[6:7]
	s_mov_b64 s[6:7], 0
	global_store_byte v[4:5], v6, off
.LBB11_355:
	s_and_b64 vcc, exec, s[6:7]
	s_cbranch_vccz .LBB11_365
; %bb.356:
	v_cvt_f32_f64_e32 v2, v[0:1]
	s_mov_b32 s6, 0x43f00000
                                        ; implicit-def: $vgpr3
	v_and_b32_e32 v6, 0x7fffffff, v2
	v_cmp_gt_u32_e32 vcc, s6, v6
	s_and_saveexec_b64 s[6:7], vcc
	s_xor_b64 s[6:7], exec, s[6:7]
	s_cbranch_execz .LBB11_362
; %bb.357:
	s_mov_b32 s8, 0x3c7fffff
	v_cmp_lt_u32_e32 vcc, s8, v6
                                        ; implicit-def: $vgpr3
	s_and_saveexec_b64 s[8:9], vcc
	s_xor_b64 s[8:9], exec, s[8:9]
; %bb.358:
	v_bfe_u32 v3, v2, 20, 1
	s_mov_b32 s10, 0x407ffff
	v_add3_u32 v3, v2, v3, s10
	v_lshrrev_b32_e32 v6, 20, v3
	v_and_b32_e32 v3, 0xff00000, v3
	s_mov_b32 s10, 0x7f00000
	v_mov_b32_e32 v7, 0x7e
	v_cmp_ne_u32_e32 vcc, s10, v3
	v_cndmask_b32_e32 v3, v7, v6, vcc
; %bb.359:
	s_andn2_saveexec_b64 s[8:9], s[8:9]
; %bb.360:
	s_mov_b32 s10, 0x46800000
	v_add_f32_e64 v3, |v2|, s10
; %bb.361:
	s_or_b64 exec, exec, s[8:9]
                                        ; implicit-def: $vgpr6
.LBB11_362:
	s_andn2_saveexec_b64 s[6:7], s[6:7]
; %bb.363:
	s_mov_b32 s8, 0x7f800000
	v_mov_b32_e32 v3, 0x7e
	v_mov_b32_e32 v7, 0x7f
	v_cmp_lt_u32_e32 vcc, s8, v6
	v_cndmask_b32_e32 v3, v3, v7, vcc
; %bb.364:
	s_or_b64 exec, exec, s[6:7]
	v_lshrrev_b32_e32 v2, 24, v2
	s_movk_i32 s6, 0x80
	v_and_or_b32 v2, v2, s6, v3
	global_store_byte v[4:5], v2, off
.LBB11_365:
	s_mov_b64 s[6:7], 0
.LBB11_366:
	s_andn2_b64 vcc, exec, s[6:7]
	s_cbranch_vccnz .LBB11_376
; %bb.367:
	v_cvt_f32_f64_e32 v2, v[0:1]
	s_mov_b32 s6, 0x47800000
                                        ; implicit-def: $vgpr3
	v_and_b32_e32 v6, 0x7fffffff, v2
	v_cmp_gt_u32_e32 vcc, s6, v6
	s_and_saveexec_b64 s[6:7], vcc
	s_xor_b64 s[6:7], exec, s[6:7]
	s_cbranch_execz .LBB11_373
; %bb.368:
	s_mov_b32 s8, 0x387fffff
	v_cmp_lt_u32_e32 vcc, s8, v6
                                        ; implicit-def: $vgpr3
	s_and_saveexec_b64 s[8:9], vcc
	s_xor_b64 s[8:9], exec, s[8:9]
; %bb.369:
	v_bfe_u32 v3, v2, 21, 1
	s_mov_b32 s10, 0x80fffff
	v_add3_u32 v3, v2, v3, s10
	v_lshrrev_b32_e32 v3, 21, v3
; %bb.370:
	s_andn2_saveexec_b64 s[8:9], s[8:9]
; %bb.371:
	s_mov_b32 s10, 0x43000000
	v_add_f32_e64 v3, |v2|, s10
; %bb.372:
	s_or_b64 exec, exec, s[8:9]
                                        ; implicit-def: $vgpr6
.LBB11_373:
	s_andn2_saveexec_b64 s[6:7], s[6:7]
; %bb.374:
	s_mov_b32 s8, 0x7f800000
	v_mov_b32_e32 v3, 0x7c
	v_mov_b32_e32 v7, 0x7f
	v_cmp_lt_u32_e32 vcc, s8, v6
	v_cndmask_b32_e32 v3, v3, v7, vcc
; %bb.375:
	s_or_b64 exec, exec, s[6:7]
	v_lshrrev_b32_e32 v2, 24, v2
	s_movk_i32 s6, 0x80
	v_and_or_b32 v2, v2, s6, v3
	global_store_byte v[4:5], v2, off
.LBB11_376:
	s_mov_b64 s[8:9], 0
	s_mov_b64 s[6:7], -1
.LBB11_377:
	s_andn2_b64 vcc, exec, s[8:9]
	s_cbranch_vccnz .LBB11_385
; %bb.378:
	s_cmp_gt_i32 s13, 14
	s_mov_b64 s[8:9], -1
	s_cbranch_scc0 .LBB11_382
; %bb.379:
	s_cmp_eq_u32 s13, 15
	s_mov_b64 s[4:5], -1
	s_cbranch_scc0 .LBB11_381
; %bb.380:
	v_cvt_f32_f64_e32 v2, v[0:1]
	s_movk_i32 s4, 0x7fff
	v_mov_b32_e32 v3, 0x7fc0
	s_mov_b64 s[6:7], -1
	v_bfe_u32 v6, v2, 16, 1
	v_cmp_o_f32_e32 vcc, v2, v2
	v_add3_u32 v2, v2, v6, s4
	v_cndmask_b32_sdwa v2, v3, v2, vcc dst_sel:DWORD dst_unused:UNUSED_PAD src0_sel:DWORD src1_sel:WORD_1
	global_store_short v[4:5], v2, off
	s_mov_b64 s[4:5], 0
.LBB11_381:
	s_mov_b64 s[8:9], 0
.LBB11_382:
	s_and_b64 vcc, exec, s[8:9]
	s_cbranch_vccz .LBB11_385
; %bb.383:
	s_cmp_eq_u32 s13, 11
	s_mov_b64 s[4:5], -1
	s_cbranch_scc0 .LBB11_385
; %bb.384:
	v_cmp_neq_f64_e32 vcc, 0, v[0:1]
	s_mov_b64 s[4:5], 0
	s_mov_b64 s[6:7], -1
	v_cndmask_b32_e64 v2, 0, 1, vcc
	global_store_byte v[4:5], v2, off
.LBB11_385:
	s_mov_b64 s[8:9], 0
.LBB11_386:
	s_and_b64 vcc, exec, s[8:9]
	s_cbranch_vccz .LBB11_425
; %bb.387:
	s_and_b32 s8, 0xffff, s12
	s_cmp_lt_i32 s8, 5
	s_mov_b64 s[6:7], -1
	s_cbranch_scc1 .LBB11_408
; %bb.388:
	s_cmp_lt_i32 s8, 8
	s_cbranch_scc1 .LBB11_398
; %bb.389:
	s_cmp_lt_i32 s8, 9
	s_cbranch_scc1 .LBB11_395
; %bb.390:
	s_cmp_gt_i32 s8, 9
	s_cbranch_scc0 .LBB11_392
; %bb.391:
	v_mov_b32_e32 v2, 0
	v_mov_b32_e32 v3, v2
	s_mov_b64 s[6:7], 0
	global_store_dwordx4 v[4:5], v[0:3], off
.LBB11_392:
	s_andn2_b64 vcc, exec, s[6:7]
	s_cbranch_vccnz .LBB11_394
; %bb.393:
	v_cvt_f32_f64_e32 v2, v[0:1]
	v_mov_b32_e32 v3, 0
	global_store_dwordx2 v[4:5], v[2:3], off
.LBB11_394:
	s_mov_b64 s[6:7], 0
.LBB11_395:
	s_andn2_b64 vcc, exec, s[6:7]
	s_cbranch_vccnz .LBB11_397
; %bb.396:
	s_movk_i32 s6, 0x1ff
	v_and_or_b32 v2, v1, s6, v0
	v_cmp_ne_u32_e32 vcc, 0, v2
	v_cndmask_b32_e64 v2, 0, 1, vcc
	v_lshrrev_b32_e32 v3, 8, v1
	s_movk_i32 s6, 0xffe
	v_bfe_u32 v6, v1, 20, 11
	v_and_or_b32 v2, v3, s6, v2
	v_sub_u32_e32 v7, 0x3f1, v6
	v_or_b32_e32 v3, 0x1000, v2
	v_med3_i32 v7, v7, 0, 13
	v_lshrrev_b32_e32 v8, v7, v3
	v_lshlrev_b32_e32 v7, v7, v8
	v_cmp_ne_u32_e32 vcc, v7, v3
	v_cndmask_b32_e64 v3, 0, 1, vcc
	v_add_u32_e32 v6, 0xfffffc10, v6
	v_or_b32_e32 v3, v8, v3
	v_lshl_or_b32 v7, v6, 12, v2
	v_cmp_gt_i32_e32 vcc, 1, v6
	v_cndmask_b32_e32 v3, v7, v3, vcc
	v_and_b32_e32 v7, 7, v3
	v_cmp_lt_i32_e32 vcc, 5, v7
	v_cndmask_b32_e64 v8, 0, 1, vcc
	v_cmp_eq_u32_e32 vcc, 3, v7
	v_cndmask_b32_e64 v7, 0, 1, vcc
	v_or_b32_e32 v7, v7, v8
	v_lshrrev_b32_e32 v3, 2, v3
	v_add_u32_e32 v3, v3, v7
	v_mov_b32_e32 v7, 0x7c00
	v_cmp_gt_i32_e32 vcc, 31, v6
	v_cndmask_b32_e32 v3, v7, v3, vcc
	v_mov_b32_e32 v8, 0x7e00
	v_cmp_ne_u32_e32 vcc, 0, v2
	s_movk_i32 s6, 0x40f
	v_cndmask_b32_e32 v2, v7, v8, vcc
	v_cmp_eq_u32_e32 vcc, s6, v6
	v_cndmask_b32_e32 v2, v3, v2, vcc
	v_lshrrev_b32_e32 v3, 16, v1
	s_mov_b32 s6, 0x8000
	v_and_or_b32 v2, v3, s6, v2
	v_and_b32_e32 v2, 0xffff, v2
	global_store_dword v[4:5], v2, off
.LBB11_397:
	s_mov_b64 s[6:7], 0
.LBB11_398:
	s_andn2_b64 vcc, exec, s[6:7]
	s_cbranch_vccnz .LBB11_407
; %bb.399:
	s_cmp_lt_i32 s8, 6
	s_mov_b64 s[6:7], -1
	s_cbranch_scc1 .LBB11_405
; %bb.400:
	s_cmp_gt_i32 s8, 6
	s_cbranch_scc0 .LBB11_402
; %bb.401:
	s_mov_b64 s[6:7], 0
	global_store_dwordx2 v[4:5], v[0:1], off
.LBB11_402:
	s_andn2_b64 vcc, exec, s[6:7]
	s_cbranch_vccnz .LBB11_404
; %bb.403:
	v_cvt_f32_f64_e32 v2, v[0:1]
	global_store_dword v[4:5], v2, off
.LBB11_404:
	s_mov_b64 s[6:7], 0
.LBB11_405:
	s_andn2_b64 vcc, exec, s[6:7]
	s_cbranch_vccnz .LBB11_407
; %bb.406:
	s_movk_i32 s6, 0x1ff
	v_and_or_b32 v2, v1, s6, v0
	v_cmp_ne_u32_e32 vcc, 0, v2
	v_cndmask_b32_e64 v2, 0, 1, vcc
	v_lshrrev_b32_e32 v3, 8, v1
	s_movk_i32 s6, 0xffe
	v_bfe_u32 v6, v1, 20, 11
	v_and_or_b32 v2, v3, s6, v2
	v_sub_u32_e32 v7, 0x3f1, v6
	v_or_b32_e32 v3, 0x1000, v2
	v_med3_i32 v7, v7, 0, 13
	v_lshrrev_b32_e32 v8, v7, v3
	v_lshlrev_b32_e32 v7, v7, v8
	v_cmp_ne_u32_e32 vcc, v7, v3
	v_cndmask_b32_e64 v3, 0, 1, vcc
	v_add_u32_e32 v6, 0xfffffc10, v6
	v_or_b32_e32 v3, v8, v3
	v_lshl_or_b32 v7, v6, 12, v2
	v_cmp_gt_i32_e32 vcc, 1, v6
	v_cndmask_b32_e32 v3, v7, v3, vcc
	v_and_b32_e32 v7, 7, v3
	v_cmp_lt_i32_e32 vcc, 5, v7
	v_cndmask_b32_e64 v8, 0, 1, vcc
	v_cmp_eq_u32_e32 vcc, 3, v7
	v_cndmask_b32_e64 v7, 0, 1, vcc
	v_or_b32_e32 v7, v7, v8
	v_lshrrev_b32_e32 v3, 2, v3
	v_add_u32_e32 v3, v3, v7
	v_mov_b32_e32 v7, 0x7c00
	v_cmp_gt_i32_e32 vcc, 31, v6
	v_cndmask_b32_e32 v3, v7, v3, vcc
	v_mov_b32_e32 v8, 0x7e00
	v_cmp_ne_u32_e32 vcc, 0, v2
	s_movk_i32 s6, 0x40f
	v_cndmask_b32_e32 v2, v7, v8, vcc
	v_cmp_eq_u32_e32 vcc, s6, v6
	v_cndmask_b32_e32 v2, v3, v2, vcc
	v_lshrrev_b32_e32 v3, 16, v1
	s_mov_b32 s6, 0x8000
	v_and_or_b32 v2, v3, s6, v2
	global_store_short v[4:5], v2, off
.LBB11_407:
	s_mov_b64 s[6:7], 0
.LBB11_408:
	s_andn2_b64 vcc, exec, s[6:7]
	s_cbranch_vccnz .LBB11_424
; %bb.409:
	s_cmp_lt_i32 s8, 2
	s_mov_b64 s[6:7], -1
	s_cbranch_scc1 .LBB11_419
; %bb.410:
	s_cmp_lt_i32 s8, 3
	s_cbranch_scc1 .LBB11_416
; %bb.411:
	s_cmp_gt_i32 s8, 3
	s_cbranch_scc0 .LBB11_413
; %bb.412:
	v_trunc_f64_e32 v[2:3], v[0:1]
	s_movk_i32 s6, 0xffe0
	v_ldexp_f64 v[6:7], v[2:3], s6
	s_mov_b32 s6, 0
	s_mov_b32 s7, 0xc1f00000
	v_floor_f64_e32 v[6:7], v[6:7]
	v_fma_f64 v[2:3], v[6:7], s[6:7], v[2:3]
	v_cvt_i32_f64_e32 v7, v[6:7]
	s_mov_b64 s[6:7], 0
	v_cvt_u32_f64_e32 v6, v[2:3]
	global_store_dwordx2 v[4:5], v[6:7], off
.LBB11_413:
	s_andn2_b64 vcc, exec, s[6:7]
	s_cbranch_vccnz .LBB11_415
; %bb.414:
	v_cvt_i32_f64_e32 v2, v[0:1]
	global_store_dword v[4:5], v2, off
.LBB11_415:
	s_mov_b64 s[6:7], 0
.LBB11_416:
	s_andn2_b64 vcc, exec, s[6:7]
	s_cbranch_vccnz .LBB11_418
; %bb.417:
	v_cvt_i32_f64_e32 v2, v[0:1]
	global_store_short v[4:5], v2, off
.LBB11_418:
	s_mov_b64 s[6:7], 0
.LBB11_419:
	s_andn2_b64 vcc, exec, s[6:7]
	s_cbranch_vccnz .LBB11_424
; %bb.420:
	s_cmp_gt_i32 s8, 0
	s_mov_b64 s[6:7], -1
	s_cbranch_scc0 .LBB11_422
; %bb.421:
	v_cvt_i32_f64_e32 v2, v[0:1]
	s_mov_b64 s[6:7], 0
	global_store_byte v[4:5], v2, off
.LBB11_422:
	s_andn2_b64 vcc, exec, s[6:7]
	s_cbranch_vccnz .LBB11_424
; %bb.423:
	v_trunc_f64_e32 v[0:1], v[0:1]
	s_movk_i32 s6, 0xffe0
	v_ldexp_f64 v[2:3], v[0:1], s6
	s_mov_b32 s6, 0
	s_mov_b32 s7, 0xc1f00000
	v_floor_f64_e32 v[2:3], v[2:3]
	v_fma_f64 v[0:1], v[2:3], s[6:7], v[0:1]
	v_cvt_u32_f64_e32 v0, v[0:1]
	global_store_byte v[4:5], v0, off
.LBB11_424:
	s_mov_b64 s[6:7], -1
.LBB11_425:
	s_andn2_b64 vcc, exec, s[6:7]
	s_cbranch_vccnz .LBB11_427
; %bb.426:
	v_add_u32_e32 v41, 0x80, v41
	s_mov_b64 s[6:7], -1
	s_branch .LBB11_428
.LBB11_427:
	s_mov_b64 s[6:7], 0
                                        ; implicit-def: $vgpr41
.LBB11_428:
	s_andn2_b64 s[8:9], s[78:79], exec
	s_and_b64 s[4:5], s[4:5], exec
	s_or_b64 s[84:85], s[8:9], s[4:5]
	s_orn2_b64 s[6:7], s[6:7], exec
.LBB11_429:
	s_or_b64 exec, exec, s[82:83]
	s_mov_b64 s[4:5], 0
	s_mov_b64 s[10:11], 0
                                        ; implicit-def: $sgpr14
                                        ; implicit-def: $vgpr4_vgpr5
                                        ; implicit-def: $vgpr0_vgpr1
	s_and_saveexec_b64 s[82:83], s[6:7]
	s_cbranch_execz .LBB11_528
; %bb.430:
	v_cmp_gt_i32_e32 vcc, s86, v41
	s_mov_b64 s[6:7], 0
	s_mov_b64 s[8:9], s[84:85]
                                        ; implicit-def: $sgpr14
                                        ; implicit-def: $vgpr4_vgpr5
                                        ; implicit-def: $vgpr0_vgpr1
	s_and_saveexec_b64 s[86:87], vcc
	s_cbranch_execz .LBB11_527
; %bb.431:
	s_andn2_b64 vcc, exec, s[62:63]
	s_cbranch_vccnz .LBB11_436
; %bb.432:
	s_andn2_b64 vcc, exec, s[72:73]
	s_cbranch_vccnz .LBB11_437
; %bb.433:
	s_add_i32 s90, s90, 1
	s_cmp_eq_u32 s88, 2
	s_cbranch_scc1 .LBB11_438
; %bb.434:
	s_and_b32 s26, s90, 28
	v_mov_b32_e32 v2, 0
	s_mov_b32 s27, 0
	s_mov_b64 s[24:25], s[58:59]
	v_mov_b32_e32 v62, 0
	v_mov_b32_e32 v0, v41
.LBB11_435:                             ; =>This Inner Loop Header: Depth=1
	s_load_dwordx8 s[12:19], s[24:25], 0x4
	s_load_dwordx4 s[20:23], s[24:25], 0x24
	s_load_dwordx8 s[4:11], s[70:71], 0x0
	s_add_u32 s24, s24, 48
	s_addc_u32 s25, s25, 0
	s_waitcnt lgkmcnt(0)
	v_mul_hi_u32 v1, s13, v0
	s_add_i32 s27, s27, 4
	s_add_u32 s70, s70, 32
	s_addc_u32 s71, s71, 0
	v_add_u32_e32 v1, v0, v1
	v_lshrrev_b32_e32 v1, s14, v1
	v_mul_lo_u32 v3, v1, s12
	v_mul_hi_u32 v4, s16, v1
	s_cmp_eq_u32 s26, s27
	v_sub_u32_e32 v0, v0, v3
	v_add_u32_e32 v3, v1, v4
	v_mul_lo_u32 v4, v0, s4
	v_mul_lo_u32 v5, v0, s5
	v_lshrrev_b32_e32 v0, s17, v3
	v_mul_lo_u32 v3, v0, s15
	v_mul_hi_u32 v6, s19, v0
	v_sub_u32_e32 v1, v1, v3
	v_add_u32_e32 v3, v0, v6
	v_lshrrev_b32_e32 v3, s20, v3
	v_mul_hi_u32 v7, s22, v3
	v_mul_lo_u32 v8, v3, s18
	v_mul_lo_u32 v6, v1, s6
	;; [unrolled: 1-line block ×3, first 2 shown]
	v_sub_u32_e32 v8, v0, v8
	v_add_u32_e32 v0, v3, v7
	v_lshrrev_b32_e32 v0, s23, v0
	v_mul_lo_u32 v7, v0, s21
	v_mul_lo_u32 v9, v8, s8
	;; [unrolled: 1-line block ×3, first 2 shown]
	v_add3_u32 v4, v4, v62, v6
	v_sub_u32_e32 v3, v3, v7
	v_mul_lo_u32 v7, v3, s10
	v_mul_lo_u32 v3, v3, s11
	v_add3_u32 v1, v5, v2, v1
	v_add3_u32 v62, v9, v4, v7
	;; [unrolled: 1-line block ×3, first 2 shown]
	s_cbranch_scc0 .LBB11_435
	s_branch .LBB11_439
.LBB11_436:
	s_mov_b64 s[4:5], -1
                                        ; implicit-def: $vgpr62
                                        ; implicit-def: $vgpr2
	s_branch .LBB11_443
.LBB11_437:
	v_mov_b32_e32 v62, 0
	v_mov_b32_e32 v2, 0
	s_branch .LBB11_442
.LBB11_438:
	s_mov_b32 s26, 0
	v_mov_b32_e32 v62, 0
	v_mov_b32_e32 v2, 0
	;; [unrolled: 1-line block ×3, first 2 shown]
.LBB11_439:
	s_and_b32 s8, s90, 3
	s_cmp_eq_u32 s8, 0
	s_cbranch_scc1 .LBB11_442
; %bb.440:
	s_lshl_b32 s4, s26, 3
	s_add_u32 s4, s58, s4
	s_addc_u32 s5, s59, 0
	s_add_u32 s4, s4, 0xc4
	s_addc_u32 s5, s5, 0
	s_mul_i32 s6, s26, 12
	s_add_u32 s6, s58, s6
	s_addc_u32 s7, s59, 0
.LBB11_441:                             ; =>This Inner Loop Header: Depth=1
	s_load_dwordx2 s[10:11], s[6:7], 0x4
	s_load_dword s9, s[6:7], 0xc
	s_load_dwordx2 s[12:13], s[4:5], 0x0
	s_add_u32 s6, s6, 12
	s_addc_u32 s7, s7, 0
	s_waitcnt lgkmcnt(0)
	v_mul_hi_u32 v1, s11, v0
	s_add_u32 s4, s4, 8
	s_addc_u32 s5, s5, 0
	s_add_i32 s8, s8, -1
	v_add_u32_e32 v1, v0, v1
	v_lshrrev_b32_e32 v1, s9, v1
	v_mul_lo_u32 v3, v1, s10
	s_cmp_lg_u32 s8, 0
	v_sub_u32_e32 v0, v0, v3
	v_mad_u64_u32 v[62:63], s[10:11], v0, s12, v[62:63]
	v_mad_u64_u32 v[2:3], s[10:11], v0, s13, v[2:3]
	v_mov_b32_e32 v0, v1
	s_cbranch_scc1 .LBB11_441
.LBB11_442:
	s_mov_b64 s[4:5], 0
.LBB11_443:
	s_andn2_b64 vcc, exec, s[4:5]
	s_cbranch_vccnz .LBB11_446
; %bb.444:
	s_waitcnt lgkmcnt(0)
	v_mul_hi_u32 v0, s53, v41
	s_andn2_b64 vcc, exec, s[68:69]
	v_add_u32_e32 v0, v41, v0
	v_lshrrev_b32_e32 v0, s54, v0
	v_mul_lo_u32 v1, v0, s52
	v_sub_u32_e32 v1, v41, v1
	v_mul_lo_u32 v62, v1, s48
	v_mul_lo_u32 v2, v1, s49
	s_cbranch_vccnz .LBB11_446
; %bb.445:
	v_mul_hi_u32 v1, s66, v0
	v_add_u32_e32 v1, v0, v1
	v_lshrrev_b32_e32 v1, s67, v1
	v_mul_lo_u32 v1, v1, s55
	v_sub_u32_e32 v0, v0, v1
	v_mad_u64_u32 v[62:63], s[4:5], v0, s50, v[62:63]
	v_mad_u64_u32 v[2:3], s[4:5], v0, s51, v[2:3]
.LBB11_446:
	s_getpc_b64 s[4:5]
	s_add_u32 s4, s4, _ZN2at6native6invokeIZZZNS0_12_GLOBAL__N_121bessel_y0_kernel_cudaERNS_18TensorIteratorBaseEENKUlvE_clEvENKUlvE_clEvEUldE_j15function_traitsIS7_EEENT1_11result_typeERKT_PrKPcPKT0_PKN3c1010ScalarTypeEi@rel32@lo+4
	s_addc_u32 s5, s5, _ZN2at6native6invokeIZZZNS0_12_GLOBAL__N_121bessel_y0_kernel_cudaERNS_18TensorIteratorBaseEENKUlvE_clEvENKUlvE_clEvEUldE_j15function_traitsIS7_EEENT1_11result_typeERKT_PrKPcPKT0_PKN3c1010ScalarTypeEi@rel32@hi+12
	s_waitcnt lgkmcnt(0)
	v_mov_b32_e32 v0, s38
	v_mov_b32_e32 v1, s39
	;; [unrolled: 1-line block ×3, first 2 shown]
	s_swappc_b64 s[30:31], s[4:5]
	v_mov_b32_e32 v2, s37
	s_and_b32 s14, s89, 0xff
	v_add_co_u32_e32 v4, vcc, s36, v62
	s_cmp_lt_i32 s14, 11
	v_addc_co_u32_e32 v5, vcc, 0, v2, vcc
	s_cbranch_scc1 .LBB11_453
; %bb.447:
	s_and_b32 s15, 0xffff, s14
	s_mov_b64 s[8:9], -1
	s_cmp_gt_i32 s15, 25
	s_mov_b64 s[4:5], s[84:85]
	s_cbranch_scc0 .LBB11_485
; %bb.448:
	s_mov_b64 s[6:7], -1
	s_cmp_gt_i32 s15, 28
	s_mov_b64 s[4:5], s[84:85]
	s_cbranch_scc0 .LBB11_469
; %bb.449:
	s_cmp_gt_i32 s15, 43
	s_mov_b64 s[4:5], s[84:85]
	s_cbranch_scc0 .LBB11_465
; %bb.450:
	;; [unrolled: 4-line block ×3, first 2 shown]
	s_cmp_eq_u32 s15, 46
	s_mov_b64 s[4:5], -1
	s_cbranch_scc0 .LBB11_458
; %bb.452:
	v_cvt_f32_f64_e32 v2, v[0:1]
	s_movk_i32 s4, 0x7fff
	v_mov_b32_e32 v3, 0x7fc0
	s_mov_b64 s[6:7], 0
	v_bfe_u32 v6, v2, 16, 1
	v_cmp_o_f32_e32 vcc, v2, v2
	v_add3_u32 v2, v2, v6, s4
	v_cndmask_b32_sdwa v2, v3, v2, vcc dst_sel:DWORD dst_unused:UNUSED_PAD src0_sel:DWORD src1_sel:WORD_1
	global_store_dword v[4:5], v2, off
	s_mov_b64 s[4:5], 0
	s_branch .LBB11_459
.LBB11_453:
	s_mov_b64 s[8:9], 0
	s_mov_b64 s[6:7], -1
	s_mov_b64 s[4:5], s[84:85]
	s_branch .LBB11_526
.LBB11_454:
	s_andn2_saveexec_b64 s[10:11], s[10:11]
	s_cbranch_execz .LBB11_338
.LBB11_455:
	s_mov_b32 s14, 0x46000000
	v_add_f32_e64 v3, |v2|, s14
	v_and_b32_e32 v3, 0xff, v3
	v_cmp_ne_u32_e32 vcc, 0, v3
	s_andn2_b64 s[8:9], s[8:9], exec
	s_and_b64 s[14:15], vcc, exec
	s_or_b64 s[8:9], s[8:9], s[14:15]
	s_or_b64 exec, exec, s[10:11]
	v_mov_b32_e32 v6, 0
	s_and_saveexec_b64 s[10:11], s[8:9]
	s_cbranch_execnz .LBB11_339
	s_branch .LBB11_340
.LBB11_456:
	s_andn2_saveexec_b64 s[10:11], s[10:11]
	s_cbranch_execz .LBB11_351
.LBB11_457:
	s_mov_b32 s14, 0x42800000
	v_add_f32_e64 v3, |v2|, s14
	v_and_b32_e32 v3, 0xff, v3
	v_cmp_ne_u32_e32 vcc, 0, v3
	s_andn2_b64 s[8:9], s[8:9], exec
	s_and_b64 s[14:15], vcc, exec
	s_or_b64 s[8:9], s[8:9], s[14:15]
	s_or_b64 exec, exec, s[10:11]
	v_mov_b32_e32 v6, 0
	s_and_saveexec_b64 s[10:11], s[8:9]
	s_cbranch_execnz .LBB11_352
	s_branch .LBB11_353
.LBB11_458:
	s_mov_b64 s[6:7], 0
.LBB11_459:
	s_and_b64 vcc, exec, s[6:7]
	s_cbranch_vccz .LBB11_464
; %bb.460:
	s_cmp_eq_u32 s15, 44
	s_mov_b64 s[4:5], -1
	s_cbranch_scc0 .LBB11_464
; %bb.461:
	v_cvt_f32_f64_e32 v2, v[0:1]
	s_movk_i32 s4, 0xff
	v_mov_b32_e32 v6, 0xff
	v_bfe_u32 v3, v2, 23, 8
	v_cmp_ne_u32_e32 vcc, s4, v3
	s_and_saveexec_b64 s[6:7], vcc
; %bb.462:
	s_mov_b32 s4, 0x3fffff
	v_lshrrev_b32_e32 v6, 23, v2
	v_and_b32_e32 v7, 0x400000, v2
	v_and_or_b32 v2, v2, s4, v3
	v_cmp_ne_u32_e32 vcc, 0, v7
	v_cmp_ne_u32_e64 s[4:5], 0, v2
	s_and_b64 s[4:5], vcc, s[4:5]
	v_cndmask_b32_e64 v2, 0, 1, s[4:5]
	v_add_u32_e32 v6, v6, v2
; %bb.463:
	s_or_b64 exec, exec, s[6:7]
	s_mov_b64 s[4:5], 0
	global_store_byte v[4:5], v6, off
.LBB11_464:
	s_mov_b64 s[6:7], 0
.LBB11_465:
	s_and_b64 vcc, exec, s[6:7]
	s_cbranch_vccz .LBB11_468
; %bb.466:
	s_cmp_eq_u32 s15, 29
	s_mov_b64 s[4:5], -1
	s_cbranch_scc0 .LBB11_468
; %bb.467:
	v_trunc_f64_e32 v[2:3], v[0:1]
	s_movk_i32 s4, 0xffe0
	s_mov_b64 s[6:7], 0
	v_ldexp_f64 v[6:7], v[2:3], s4
	s_mov_b32 s4, 0
	s_mov_b32 s5, 0xc1f00000
	v_floor_f64_e32 v[6:7], v[6:7]
	v_fma_f64 v[2:3], v[6:7], s[4:5], v[2:3]
	v_cvt_u32_f64_e32 v7, v[6:7]
	s_mov_b64 s[4:5], 0
	v_cvt_u32_f64_e32 v6, v[2:3]
	global_store_dwordx2 v[4:5], v[6:7], off
	s_branch .LBB11_469
.LBB11_468:
	s_mov_b64 s[6:7], 0
.LBB11_469:
	s_and_b64 vcc, exec, s[6:7]
	s_cbranch_vccz .LBB11_484
; %bb.470:
	s_cmp_lt_i32 s15, 27
	s_mov_b64 s[6:7], -1
	s_cbranch_scc1 .LBB11_476
; %bb.471:
	v_cvt_u32_f64_e32 v2, v[0:1]
	s_cmp_gt_i32 s15, 27
	s_cbranch_scc0 .LBB11_473
; %bb.472:
	s_mov_b64 s[6:7], 0
	global_store_dword v[4:5], v2, off
.LBB11_473:
	s_andn2_b64 vcc, exec, s[6:7]
	s_cbranch_vccnz .LBB11_475
; %bb.474:
	global_store_short v[4:5], v2, off
.LBB11_475:
	s_mov_b64 s[6:7], 0
.LBB11_476:
	s_andn2_b64 vcc, exec, s[6:7]
	s_cbranch_vccnz .LBB11_484
; %bb.477:
	v_cvt_f32_f64_e32 v2, v[0:1]
	s_mov_b32 s6, 0x43800000
	v_mov_b32_e32 v6, 0x80
	v_and_b32_e32 v3, 0x7fffffff, v2
	v_cmp_gt_u32_e32 vcc, s6, v3
	s_and_saveexec_b64 s[6:7], vcc
	s_cbranch_execz .LBB11_483
; %bb.478:
	s_mov_b32 s8, 0x3bffffff
	v_cmp_lt_u32_e32 vcc, s8, v3
	s_mov_b64 s[8:9], 0
                                        ; implicit-def: $vgpr3
	s_and_saveexec_b64 s[10:11], vcc
	s_xor_b64 s[10:11], exec, s[10:11]
	s_cbranch_execz .LBB11_1121
; %bb.479:
	v_bfe_u32 v3, v2, 20, 1
	s_mov_b32 s12, 0x487ffff
	v_add3_u32 v3, v2, v3, s12
	s_mov_b64 s[8:9], exec
	v_lshrrev_b32_e32 v3, 20, v3
	s_andn2_saveexec_b64 s[10:11], s[10:11]
	s_cbranch_execnz .LBB11_1122
.LBB11_480:
	s_or_b64 exec, exec, s[10:11]
	v_mov_b32_e32 v6, 0
	s_and_saveexec_b64 s[10:11], s[8:9]
.LBB11_481:
	v_lshrrev_b32_e32 v2, 24, v2
	s_movk_i32 s8, 0x80
	v_and_or_b32 v6, v2, s8, v3
.LBB11_482:
	s_or_b64 exec, exec, s[10:11]
.LBB11_483:
	s_or_b64 exec, exec, s[6:7]
	global_store_byte v[4:5], v6, off
.LBB11_484:
	s_mov_b64 s[8:9], 0
.LBB11_485:
	s_mov_b64 s[6:7], 0
	s_and_b64 vcc, exec, s[8:9]
	s_cbranch_vccz .LBB11_525
; %bb.486:
	s_cmp_gt_i32 s15, 22
	s_mov_b64 s[8:9], -1
	s_cbranch_scc0 .LBB11_518
; %bb.487:
	s_cmp_lt_i32 s15, 24
	s_cbranch_scc1 .LBB11_507
; %bb.488:
	s_cmp_gt_i32 s15, 24
	s_cbranch_scc0 .LBB11_496
; %bb.489:
	v_cvt_f32_f64_e32 v2, v[0:1]
	s_mov_b32 s8, 0x47800000
	v_mov_b32_e32 v6, 0x80
	v_and_b32_e32 v3, 0x7fffffff, v2
	v_cmp_gt_u32_e32 vcc, s8, v3
	s_and_saveexec_b64 s[8:9], vcc
	s_cbranch_execz .LBB11_495
; %bb.490:
	s_mov_b32 s10, 0x37ffffff
	v_cmp_lt_u32_e32 vcc, s10, v3
	s_mov_b64 s[10:11], 0
                                        ; implicit-def: $vgpr3
	s_and_saveexec_b64 s[12:13], vcc
	s_xor_b64 s[12:13], exec, s[12:13]
	s_cbranch_execz .LBB11_1125
; %bb.491:
	v_bfe_u32 v3, v2, 21, 1
	s_mov_b32 s16, 0x88fffff
	v_add3_u32 v3, v2, v3, s16
	s_mov_b64 s[10:11], exec
	v_lshrrev_b32_e32 v3, 21, v3
	s_andn2_saveexec_b64 s[12:13], s[12:13]
	s_cbranch_execnz .LBB11_1126
.LBB11_492:
	s_or_b64 exec, exec, s[12:13]
	v_mov_b32_e32 v6, 0
	s_and_saveexec_b64 s[12:13], s[10:11]
.LBB11_493:
	v_lshrrev_b32_e32 v2, 24, v2
	s_movk_i32 s10, 0x80
	v_and_or_b32 v6, v2, s10, v3
.LBB11_494:
	s_or_b64 exec, exec, s[12:13]
.LBB11_495:
	s_or_b64 exec, exec, s[8:9]
	s_mov_b64 s[8:9], 0
	global_store_byte v[4:5], v6, off
.LBB11_496:
	s_and_b64 vcc, exec, s[8:9]
	s_cbranch_vccz .LBB11_506
; %bb.497:
	v_cvt_f32_f64_e32 v2, v[0:1]
	s_mov_b32 s8, 0x43f00000
                                        ; implicit-def: $vgpr3
	v_and_b32_e32 v6, 0x7fffffff, v2
	v_cmp_gt_u32_e32 vcc, s8, v6
	s_and_saveexec_b64 s[8:9], vcc
	s_xor_b64 s[8:9], exec, s[8:9]
	s_cbranch_execz .LBB11_503
; %bb.498:
	s_mov_b32 s10, 0x3c7fffff
	v_cmp_lt_u32_e32 vcc, s10, v6
                                        ; implicit-def: $vgpr3
	s_and_saveexec_b64 s[10:11], vcc
	s_xor_b64 s[10:11], exec, s[10:11]
; %bb.499:
	v_bfe_u32 v3, v2, 20, 1
	s_mov_b32 s12, 0x407ffff
	v_add3_u32 v3, v2, v3, s12
	v_lshrrev_b32_e32 v6, 20, v3
	v_and_b32_e32 v3, 0xff00000, v3
	s_mov_b32 s12, 0x7f00000
	v_mov_b32_e32 v7, 0x7e
	v_cmp_ne_u32_e32 vcc, s12, v3
	v_cndmask_b32_e32 v3, v7, v6, vcc
; %bb.500:
	s_andn2_saveexec_b64 s[10:11], s[10:11]
; %bb.501:
	s_mov_b32 s12, 0x46800000
	v_add_f32_e64 v3, |v2|, s12
; %bb.502:
	s_or_b64 exec, exec, s[10:11]
                                        ; implicit-def: $vgpr6
.LBB11_503:
	s_andn2_saveexec_b64 s[8:9], s[8:9]
; %bb.504:
	s_mov_b32 s10, 0x7f800000
	v_mov_b32_e32 v3, 0x7e
	v_mov_b32_e32 v7, 0x7f
	v_cmp_lt_u32_e32 vcc, s10, v6
	v_cndmask_b32_e32 v3, v3, v7, vcc
; %bb.505:
	s_or_b64 exec, exec, s[8:9]
	v_lshrrev_b32_e32 v2, 24, v2
	s_movk_i32 s8, 0x80
	v_and_or_b32 v2, v2, s8, v3
	global_store_byte v[4:5], v2, off
.LBB11_506:
	s_mov_b64 s[8:9], 0
.LBB11_507:
	s_andn2_b64 vcc, exec, s[8:9]
	s_cbranch_vccnz .LBB11_517
; %bb.508:
	v_cvt_f32_f64_e32 v2, v[0:1]
	s_mov_b32 s8, 0x47800000
                                        ; implicit-def: $vgpr3
	v_and_b32_e32 v6, 0x7fffffff, v2
	v_cmp_gt_u32_e32 vcc, s8, v6
	s_and_saveexec_b64 s[8:9], vcc
	s_xor_b64 s[8:9], exec, s[8:9]
	s_cbranch_execz .LBB11_514
; %bb.509:
	s_mov_b32 s10, 0x387fffff
	v_cmp_lt_u32_e32 vcc, s10, v6
                                        ; implicit-def: $vgpr3
	s_and_saveexec_b64 s[10:11], vcc
	s_xor_b64 s[10:11], exec, s[10:11]
; %bb.510:
	v_bfe_u32 v3, v2, 21, 1
	s_mov_b32 s12, 0x80fffff
	v_add3_u32 v3, v2, v3, s12
	v_lshrrev_b32_e32 v3, 21, v3
; %bb.511:
	s_andn2_saveexec_b64 s[10:11], s[10:11]
; %bb.512:
	s_mov_b32 s12, 0x43000000
	v_add_f32_e64 v3, |v2|, s12
; %bb.513:
	s_or_b64 exec, exec, s[10:11]
                                        ; implicit-def: $vgpr6
.LBB11_514:
	s_andn2_saveexec_b64 s[8:9], s[8:9]
; %bb.515:
	s_mov_b32 s10, 0x7f800000
	v_mov_b32_e32 v3, 0x7c
	v_mov_b32_e32 v7, 0x7f
	v_cmp_lt_u32_e32 vcc, s10, v6
	v_cndmask_b32_e32 v3, v3, v7, vcc
; %bb.516:
	s_or_b64 exec, exec, s[8:9]
	v_lshrrev_b32_e32 v2, 24, v2
	s_movk_i32 s8, 0x80
	v_and_or_b32 v2, v2, s8, v3
	global_store_byte v[4:5], v2, off
.LBB11_517:
	s_mov_b64 s[8:9], 0
.LBB11_518:
	s_andn2_b64 vcc, exec, s[8:9]
	s_mov_b64 s[8:9], 0
	s_cbranch_vccnz .LBB11_526
; %bb.519:
	s_cmp_gt_i32 s15, 14
	s_mov_b64 s[10:11], -1
	s_cbranch_scc0 .LBB11_523
; %bb.520:
	s_cmp_eq_u32 s15, 15
	s_mov_b64 s[4:5], -1
	s_cbranch_scc0 .LBB11_522
; %bb.521:
	v_cvt_f32_f64_e32 v2, v[0:1]
	s_movk_i32 s4, 0x7fff
	v_mov_b32_e32 v3, 0x7fc0
	v_bfe_u32 v6, v2, 16, 1
	v_cmp_o_f32_e32 vcc, v2, v2
	v_add3_u32 v2, v2, v6, s4
	v_cndmask_b32_sdwa v2, v3, v2, vcc dst_sel:DWORD dst_unused:UNUSED_PAD src0_sel:DWORD src1_sel:WORD_1
	global_store_short v[4:5], v2, off
	s_mov_b64 s[4:5], 0
.LBB11_522:
	s_mov_b64 s[10:11], 0
.LBB11_523:
	s_and_b64 vcc, exec, s[10:11]
	s_cbranch_vccz .LBB11_526
; %bb.524:
	s_cmp_lg_u32 s15, 11
	s_cselect_b64 s[10:11], -1, 0
	s_andn2_b64 s[4:5], s[4:5], exec
	s_and_b64 s[10:11], s[10:11], exec
	s_mov_b64 s[8:9], -1
	s_or_b64 s[4:5], s[4:5], s[10:11]
	s_branch .LBB11_526
.LBB11_525:
	s_mov_b64 s[8:9], 0
.LBB11_526:
	s_and_b64 s[10:11], s[6:7], exec
	s_and_b64 s[6:7], s[8:9], exec
	s_andn2_b64 s[8:9], s[84:85], exec
	s_and_b64 s[4:5], s[4:5], exec
	s_or_b64 s[8:9], s[8:9], s[4:5]
.LBB11_527:
	s_or_b64 exec, exec, s[86:87]
	s_and_b64 s[4:5], s[6:7], exec
	s_andn2_b64 s[6:7], s[84:85], exec
	s_and_b64 s[8:9], s[8:9], exec
	s_and_b64 s[10:11], s[10:11], exec
	s_or_b64 s[84:85], s[6:7], s[8:9]
.LBB11_528:
	s_or_b64 exec, exec, s[82:83]
	s_and_b64 s[6:7], s[10:11], exec
	s_andn2_b64 s[8:9], s[78:79], exec
	s_and_b64 s[10:11], s[84:85], exec
	s_and_b64 s[4:5], s[4:5], exec
	s_or_b64 s[78:79], s[8:9], s[10:11]
.LBB11_529:
	s_or_b64 exec, exec, s[80:81]
	s_and_b64 s[80:81], s[4:5], exec
	s_andn2_b64 s[4:5], s[74:75], exec
	s_and_b64 s[8:9], s[78:79], exec
	s_and_b64 s[6:7], s[6:7], exec
	s_or_b64 s[74:75], s[4:5], s[8:9]
	s_or_b64 exec, exec, s[76:77]
	s_mov_b64 s[4:5], 0
	s_and_saveexec_b64 s[8:9], s[74:75]
	s_cbranch_execz .LBB11_146
.LBB11_530:
	s_mov_b64 s[4:5], exec
	s_andn2_b64 s[80:81], s[80:81], exec
	s_trap 2
	s_or_b64 exec, exec, s[8:9]
	s_and_saveexec_b64 s[8:9], s[80:81]
	s_xor_b64 s[8:9], exec, s[8:9]
	s_cbranch_execnz .LBB11_147
.LBB11_531:
	s_or_b64 exec, exec, s[8:9]
	s_and_saveexec_b64 s[8:9], s[6:7]
	s_xor_b64 s[6:7], exec, s[8:9]
	s_cbranch_execz .LBB11_569
.LBB11_532:
	s_sext_i32_i16 s10, s14
	s_cmp_lt_i32 s10, 5
	s_mov_b64 s[8:9], -1
	s_cbranch_scc1 .LBB11_553
; %bb.533:
	s_cmp_lt_i32 s10, 8
	s_cbranch_scc1 .LBB11_543
; %bb.534:
	s_cmp_lt_i32 s10, 9
	s_cbranch_scc1 .LBB11_540
; %bb.535:
	s_cmp_gt_i32 s10, 9
	s_cbranch_scc0 .LBB11_537
; %bb.536:
	v_mov_b32_e32 v2, 0
	v_mov_b32_e32 v3, v2
	s_mov_b64 s[8:9], 0
	global_store_dwordx4 v[4:5], v[0:3], off
.LBB11_537:
	s_andn2_b64 vcc, exec, s[8:9]
	s_cbranch_vccnz .LBB11_539
; %bb.538:
	v_cvt_f32_f64_e32 v2, v[0:1]
	v_mov_b32_e32 v3, 0
	global_store_dwordx2 v[4:5], v[2:3], off
.LBB11_539:
	s_mov_b64 s[8:9], 0
.LBB11_540:
	s_andn2_b64 vcc, exec, s[8:9]
	s_cbranch_vccnz .LBB11_542
; %bb.541:
	s_movk_i32 s8, 0x1ff
	v_and_or_b32 v2, v1, s8, v0
	v_cmp_ne_u32_e32 vcc, 0, v2
	v_cndmask_b32_e64 v2, 0, 1, vcc
	v_lshrrev_b32_e32 v3, 8, v1
	s_movk_i32 s8, 0xffe
	v_bfe_u32 v6, v1, 20, 11
	v_and_or_b32 v2, v3, s8, v2
	v_sub_u32_e32 v7, 0x3f1, v6
	v_or_b32_e32 v3, 0x1000, v2
	v_med3_i32 v7, v7, 0, 13
	v_lshrrev_b32_e32 v8, v7, v3
	v_lshlrev_b32_e32 v7, v7, v8
	v_cmp_ne_u32_e32 vcc, v7, v3
	v_cndmask_b32_e64 v3, 0, 1, vcc
	v_add_u32_e32 v6, 0xfffffc10, v6
	v_or_b32_e32 v3, v8, v3
	v_lshl_or_b32 v7, v6, 12, v2
	v_cmp_gt_i32_e32 vcc, 1, v6
	v_cndmask_b32_e32 v3, v7, v3, vcc
	v_and_b32_e32 v7, 7, v3
	v_cmp_lt_i32_e32 vcc, 5, v7
	v_cndmask_b32_e64 v8, 0, 1, vcc
	v_cmp_eq_u32_e32 vcc, 3, v7
	v_cndmask_b32_e64 v7, 0, 1, vcc
	v_or_b32_e32 v7, v7, v8
	v_lshrrev_b32_e32 v3, 2, v3
	v_add_u32_e32 v3, v3, v7
	v_mov_b32_e32 v7, 0x7c00
	v_cmp_gt_i32_e32 vcc, 31, v6
	v_cndmask_b32_e32 v3, v7, v3, vcc
	v_mov_b32_e32 v8, 0x7e00
	v_cmp_ne_u32_e32 vcc, 0, v2
	s_movk_i32 s8, 0x40f
	v_cndmask_b32_e32 v2, v7, v8, vcc
	v_cmp_eq_u32_e32 vcc, s8, v6
	v_cndmask_b32_e32 v2, v3, v2, vcc
	v_lshrrev_b32_e32 v3, 16, v1
	s_mov_b32 s8, 0x8000
	v_and_or_b32 v2, v3, s8, v2
	v_and_b32_e32 v2, 0xffff, v2
	global_store_dword v[4:5], v2, off
.LBB11_542:
	s_mov_b64 s[8:9], 0
.LBB11_543:
	s_andn2_b64 vcc, exec, s[8:9]
	s_cbranch_vccnz .LBB11_552
; %bb.544:
	s_sext_i32_i16 s10, s14
	s_cmp_lt_i32 s10, 6
	s_mov_b64 s[8:9], -1
	s_cbranch_scc1 .LBB11_550
; %bb.545:
	s_cmp_gt_i32 s10, 6
	s_cbranch_scc0 .LBB11_547
; %bb.546:
	s_mov_b64 s[8:9], 0
	global_store_dwordx2 v[4:5], v[0:1], off
.LBB11_547:
	s_andn2_b64 vcc, exec, s[8:9]
	s_cbranch_vccnz .LBB11_549
; %bb.548:
	v_cvt_f32_f64_e32 v2, v[0:1]
	global_store_dword v[4:5], v2, off
.LBB11_549:
	s_mov_b64 s[8:9], 0
.LBB11_550:
	s_andn2_b64 vcc, exec, s[8:9]
	s_cbranch_vccnz .LBB11_552
; %bb.551:
	s_movk_i32 s8, 0x1ff
	v_and_or_b32 v2, v1, s8, v0
	v_cmp_ne_u32_e32 vcc, 0, v2
	v_cndmask_b32_e64 v2, 0, 1, vcc
	v_lshrrev_b32_e32 v3, 8, v1
	s_movk_i32 s8, 0xffe
	v_bfe_u32 v6, v1, 20, 11
	v_and_or_b32 v2, v3, s8, v2
	v_sub_u32_e32 v7, 0x3f1, v6
	v_or_b32_e32 v3, 0x1000, v2
	v_med3_i32 v7, v7, 0, 13
	v_lshrrev_b32_e32 v8, v7, v3
	v_lshlrev_b32_e32 v7, v7, v8
	v_cmp_ne_u32_e32 vcc, v7, v3
	v_cndmask_b32_e64 v3, 0, 1, vcc
	v_add_u32_e32 v6, 0xfffffc10, v6
	v_or_b32_e32 v3, v8, v3
	v_lshl_or_b32 v7, v6, 12, v2
	v_cmp_gt_i32_e32 vcc, 1, v6
	v_cndmask_b32_e32 v3, v7, v3, vcc
	v_and_b32_e32 v7, 7, v3
	v_cmp_lt_i32_e32 vcc, 5, v7
	v_cndmask_b32_e64 v8, 0, 1, vcc
	v_cmp_eq_u32_e32 vcc, 3, v7
	v_cndmask_b32_e64 v7, 0, 1, vcc
	v_or_b32_e32 v7, v7, v8
	v_lshrrev_b32_e32 v3, 2, v3
	v_add_u32_e32 v3, v3, v7
	v_mov_b32_e32 v7, 0x7c00
	v_cmp_gt_i32_e32 vcc, 31, v6
	v_cndmask_b32_e32 v3, v7, v3, vcc
	v_mov_b32_e32 v8, 0x7e00
	v_cmp_ne_u32_e32 vcc, 0, v2
	s_movk_i32 s8, 0x40f
	v_cndmask_b32_e32 v2, v7, v8, vcc
	v_cmp_eq_u32_e32 vcc, s8, v6
	v_cndmask_b32_e32 v2, v3, v2, vcc
	v_lshrrev_b32_e32 v3, 16, v1
	s_mov_b32 s8, 0x8000
	v_and_or_b32 v2, v3, s8, v2
	global_store_short v[4:5], v2, off
.LBB11_552:
	s_mov_b64 s[8:9], 0
.LBB11_553:
	s_andn2_b64 vcc, exec, s[8:9]
	s_cbranch_vccnz .LBB11_569
; %bb.554:
	s_sext_i32_i16 s10, s14
	s_cmp_lt_i32 s10, 2
	s_mov_b64 s[8:9], -1
	s_cbranch_scc1 .LBB11_564
; %bb.555:
	s_cmp_lt_i32 s10, 3
	s_cbranch_scc1 .LBB11_561
; %bb.556:
	s_cmp_gt_i32 s10, 3
	s_cbranch_scc0 .LBB11_558
; %bb.557:
	v_trunc_f64_e32 v[2:3], v[0:1]
	s_movk_i32 s8, 0xffe0
	v_ldexp_f64 v[6:7], v[2:3], s8
	s_mov_b32 s8, 0
	s_mov_b32 s9, 0xc1f00000
	v_floor_f64_e32 v[6:7], v[6:7]
	v_fma_f64 v[2:3], v[6:7], s[8:9], v[2:3]
	v_cvt_i32_f64_e32 v7, v[6:7]
	s_mov_b64 s[8:9], 0
	v_cvt_u32_f64_e32 v6, v[2:3]
	global_store_dwordx2 v[4:5], v[6:7], off
.LBB11_558:
	s_andn2_b64 vcc, exec, s[8:9]
	s_cbranch_vccnz .LBB11_560
; %bb.559:
	v_cvt_i32_f64_e32 v2, v[0:1]
	global_store_dword v[4:5], v2, off
.LBB11_560:
	s_mov_b64 s[8:9], 0
.LBB11_561:
	s_andn2_b64 vcc, exec, s[8:9]
	s_cbranch_vccnz .LBB11_563
; %bb.562:
	v_cvt_i32_f64_e32 v2, v[0:1]
	global_store_short v[4:5], v2, off
.LBB11_563:
	s_mov_b64 s[8:9], 0
.LBB11_564:
	s_andn2_b64 vcc, exec, s[8:9]
	s_cbranch_vccnz .LBB11_569
; %bb.565:
	s_sext_i32_i16 s8, s14
	s_cmp_gt_i32 s8, 0
	s_mov_b64 s[8:9], -1
	s_cbranch_scc0 .LBB11_567
; %bb.566:
	v_cvt_i32_f64_e32 v2, v[0:1]
	s_mov_b64 s[8:9], 0
	global_store_byte v[4:5], v2, off
.LBB11_567:
	s_andn2_b64 vcc, exec, s[8:9]
	s_cbranch_vccnz .LBB11_569
; %bb.568:
	v_trunc_f64_e32 v[0:1], v[0:1]
	s_movk_i32 s8, 0xffe0
	v_ldexp_f64 v[2:3], v[0:1], s8
	s_mov_b32 s8, 0
	s_mov_b32 s9, 0xc1f00000
	v_floor_f64_e32 v[2:3], v[2:3]
	v_fma_f64 v[0:1], v[2:3], s[8:9], v[0:1]
	v_cvt_u32_f64_e32 v0, v[0:1]
	global_store_byte v[4:5], v0, off
.LBB11_569:
	s_or_b64 exec, exec, s[6:7]
	s_waitcnt lgkmcnt(0)
	s_and_b64 s[48:49], s[4:5], exec
                                        ; implicit-def: $vgpr6
                                        ; implicit-def: $vgpr41
.LBB11_570:
	s_or_saveexec_b64 s[50:51], s[64:65]
	s_mov_b64 s[4:5], 0
                                        ; implicit-def: $sgpr16
                                        ; implicit-def: $vgpr4_vgpr5
                                        ; implicit-def: $vgpr0_vgpr1
	s_xor_b64 exec, exec, s[50:51]
	s_cbranch_execz .LBB11_1059
; %bb.571:
	v_cndmask_b32_e64 v0, 0, 1, s[62:63]
	v_cmp_ne_u32_e64 s[4:5], 1, v0
	s_andn2_b64 vcc, exec, s[62:63]
	s_cbranch_vccnz .LBB11_577
; %bb.572:
	s_cmp_lg_u32 s33, 0
	s_mov_b32 s30, 0
	s_cbranch_scc0 .LBB11_578
; %bb.573:
	s_min_u32 s31, s88, 15
	s_add_i32 s31, s31, 1
	s_cmp_eq_u32 s88, 2
	s_cbranch_scc1 .LBB11_579
; %bb.574:
	s_and_b32 s30, s31, 28
	s_add_u32 s6, s58, 0xc4
	s_addc_u32 s7, s59, 0
	v_mov_b32_e32 v2, 0
	s_mov_b32 s36, 0
	s_mov_b64 s[28:29], s[58:59]
	v_mov_b32_e32 v11, 0
	v_mov_b32_e32 v0, v41
.LBB11_575:                             ; =>This Inner Loop Header: Depth=1
	s_load_dwordx8 s[16:23], s[28:29], 0x4
	s_load_dwordx4 s[24:27], s[28:29], 0x24
	s_load_dwordx8 s[8:15], s[6:7], 0x0
	s_add_u32 s28, s28, 48
	s_addc_u32 s29, s29, 0
	s_waitcnt lgkmcnt(0)
	v_mul_hi_u32 v1, s17, v0
	s_add_i32 s36, s36, 4
	s_add_u32 s6, s6, 32
	s_addc_u32 s7, s7, 0
	v_add_u32_e32 v1, v0, v1
	v_lshrrev_b32_e32 v1, s18, v1
	v_mul_lo_u32 v3, v1, s16
	v_mul_hi_u32 v4, s20, v1
	s_cmp_lg_u32 s30, s36
	v_sub_u32_e32 v0, v0, v3
	v_add_u32_e32 v3, v1, v4
	v_mul_lo_u32 v4, v0, s8
	v_mul_lo_u32 v5, v0, s9
	v_lshrrev_b32_e32 v0, s21, v3
	v_mul_lo_u32 v3, v0, s19
	v_mul_hi_u32 v7, s23, v0
	v_sub_u32_e32 v1, v1, v3
	v_add_u32_e32 v3, v0, v7
	v_lshrrev_b32_e32 v3, s24, v3
	v_mul_hi_u32 v8, s26, v3
	v_mul_lo_u32 v9, v3, s22
	v_mul_lo_u32 v7, v1, s10
	;; [unrolled: 1-line block ×3, first 2 shown]
	v_sub_u32_e32 v9, v0, v9
	v_add_u32_e32 v0, v3, v8
	v_lshrrev_b32_e32 v0, s27, v0
	v_mul_lo_u32 v8, v0, s25
	v_mul_lo_u32 v10, v9, s12
	;; [unrolled: 1-line block ×3, first 2 shown]
	v_add3_u32 v4, v4, v11, v7
	v_sub_u32_e32 v3, v3, v8
	v_mul_lo_u32 v8, v3, s14
	v_mul_lo_u32 v3, v3, s15
	v_add3_u32 v1, v5, v2, v1
	v_add3_u32 v11, v10, v4, v8
	v_add3_u32 v2, v9, v1, v3
	s_cbranch_scc1 .LBB11_575
; %bb.576:
	s_and_b32 s10, s31, 3
	s_cmp_eq_u32 s10, 0
	s_cbranch_scc0 .LBB11_580
	s_branch .LBB11_582
.LBB11_577:
                                        ; implicit-def: $vgpr11
                                        ; implicit-def: $vgpr2
	s_branch .LBB11_583
.LBB11_578:
	v_mov_b32_e32 v11, 0
	v_mov_b32_e32 v2, 0
	s_branch .LBB11_582
.LBB11_579:
	v_mov_b32_e32 v11, 0
	v_mov_b32_e32 v2, 0
	;; [unrolled: 1-line block ×3, first 2 shown]
	s_and_b32 s10, s31, 3
	s_cmp_eq_u32 s10, 0
	s_cbranch_scc1 .LBB11_582
.LBB11_580:
	s_lshl_b32 s6, s30, 3
	s_add_u32 s6, s58, s6
	s_addc_u32 s7, s59, 0
	s_add_u32 s6, s6, 0xc4
	s_addc_u32 s7, s7, 0
	s_mul_i32 s8, s30, 12
	s_add_u32 s8, s58, s8
	s_addc_u32 s9, s59, 0
.LBB11_581:                             ; =>This Inner Loop Header: Depth=1
	s_load_dwordx2 s[12:13], s[8:9], 0x4
	s_load_dword s11, s[8:9], 0xc
	s_load_dwordx2 s[14:15], s[6:7], 0x0
	s_add_u32 s8, s8, 12
	s_addc_u32 s9, s9, 0
	s_waitcnt lgkmcnt(0)
	v_mul_hi_u32 v1, s13, v0
	s_add_u32 s6, s6, 8
	s_addc_u32 s7, s7, 0
	s_add_i32 s10, s10, -1
	v_add_u32_e32 v1, v0, v1
	v_lshrrev_b32_e32 v1, s11, v1
	v_mul_lo_u32 v3, v1, s12
	s_cmp_lg_u32 s10, 0
	v_sub_u32_e32 v0, v0, v3
	v_mad_u64_u32 v[11:12], s[12:13], v0, s14, v[11:12]
	v_mad_u64_u32 v[2:3], s[12:13], v0, s15, v[2:3]
	v_mov_b32_e32 v0, v1
	s_cbranch_scc1 .LBB11_581
.LBB11_582:
	s_cbranch_execnz .LBB11_585
.LBB11_583:
	s_load_dwordx4 s[8:11], s[58:59], 0x4
	s_load_dwordx2 s[6:7], s[58:59], 0xc4
	s_cmp_lt_u32 s33, 2
	s_waitcnt lgkmcnt(0)
	v_mul_hi_u32 v0, s9, v41
	v_add_u32_e32 v0, v41, v0
	v_lshrrev_b32_e32 v0, s10, v0
	v_mul_lo_u32 v1, v0, s8
	v_sub_u32_e32 v1, v41, v1
	v_mul_lo_u32 v11, v1, s6
	v_mul_lo_u32 v2, v1, s7
	s_cbranch_scc1 .LBB11_585
; %bb.584:
	s_load_dwordx4 s[8:11], s[58:59], 0x10
	s_load_dwordx2 s[6:7], s[58:59], 0xcc
	s_waitcnt lgkmcnt(0)
	v_mul_hi_u32 v1, s9, v0
	v_add_u32_e32 v1, v0, v1
	v_lshrrev_b32_e32 v1, s10, v1
	v_mul_lo_u32 v1, v1, s8
	v_sub_u32_e32 v0, v0, v1
	v_mad_u64_u32 v[11:12], s[8:9], v0, s6, v[11:12]
	v_mad_u64_u32 v[2:3], s[6:7], v0, s7, v[2:3]
.LBB11_585:
	s_and_b64 vcc, exec, s[4:5]
	v_add_u32_e32 v0, 0x80, v41
	buffer_store_dword v11, off, s[0:3], 0 offset:24 ; 4-byte Folded Spill
	s_nop 0
	buffer_store_dword v12, off, s[0:3], 0 offset:28 ; 4-byte Folded Spill
	s_cbranch_vccnz .LBB11_591
; %bb.586:
	s_cmp_lg_u32 s33, 0
	s_mov_b32 s30, 0
	s_cbranch_scc0 .LBB11_592
; %bb.587:
	s_min_u32 s31, s88, 15
	s_add_i32 s31, s31, 1
	s_cmp_eq_u32 s88, 2
	s_cbranch_scc1 .LBB11_593
; %bb.588:
	s_and_b32 s30, s31, 28
	s_add_u32 s6, s58, 0xc4
	s_addc_u32 s7, s59, 0
	v_mov_b32_e32 v15, 0
	s_mov_b32 s36, 0
	s_mov_b64 s[28:29], s[58:59]
	v_mov_b32_e32 v12, 0
	v_mov_b32_e32 v1, v0
.LBB11_589:                             ; =>This Inner Loop Header: Depth=1
	s_load_dwordx8 s[16:23], s[28:29], 0x4
	s_load_dwordx4 s[24:27], s[28:29], 0x24
	s_load_dwordx8 s[8:15], s[6:7], 0x0
	s_add_u32 s28, s28, 48
	s_addc_u32 s29, s29, 0
	s_waitcnt lgkmcnt(0)
	v_mul_hi_u32 v3, s17, v1
	s_add_i32 s36, s36, 4
	s_add_u32 s6, s6, 32
	s_addc_u32 s7, s7, 0
	v_add_u32_e32 v3, v1, v3
	v_lshrrev_b32_e32 v3, s18, v3
	v_mul_lo_u32 v4, v3, s16
	v_mul_hi_u32 v5, s20, v3
	s_cmp_lg_u32 s30, s36
	v_sub_u32_e32 v1, v1, v4
	v_add_u32_e32 v4, v3, v5
	v_mul_lo_u32 v5, v1, s8
	v_mul_lo_u32 v7, v1, s9
	v_lshrrev_b32_e32 v1, s21, v4
	v_mul_lo_u32 v4, v1, s19
	v_mul_hi_u32 v8, s23, v1
	v_sub_u32_e32 v3, v3, v4
	v_add_u32_e32 v4, v1, v8
	v_lshrrev_b32_e32 v4, s24, v4
	v_mul_hi_u32 v9, s26, v4
	v_mul_lo_u32 v10, v4, s22
	v_mul_lo_u32 v8, v3, s10
	;; [unrolled: 1-line block ×3, first 2 shown]
	v_sub_u32_e32 v10, v1, v10
	v_add_u32_e32 v1, v4, v9
	v_lshrrev_b32_e32 v1, s27, v1
	v_mul_lo_u32 v9, v1, s25
	v_mul_lo_u32 v11, v10, s12
	;; [unrolled: 1-line block ×3, first 2 shown]
	v_add3_u32 v5, v5, v12, v8
	v_sub_u32_e32 v4, v4, v9
	v_mul_lo_u32 v9, v4, s14
	v_mul_lo_u32 v4, v4, s15
	v_add3_u32 v3, v7, v15, v3
	v_add3_u32 v12, v11, v5, v9
	;; [unrolled: 1-line block ×3, first 2 shown]
	s_cbranch_scc1 .LBB11_589
; %bb.590:
	s_and_b32 s10, s31, 3
	s_cmp_eq_u32 s10, 0
	s_cbranch_scc0 .LBB11_594
	s_branch .LBB11_596
.LBB11_591:
                                        ; implicit-def: $vgpr12
                                        ; implicit-def: $vgpr15
	s_branch .LBB11_597
.LBB11_592:
	v_mov_b32_e32 v12, 0
	v_mov_b32_e32 v15, 0
	s_branch .LBB11_596
.LBB11_593:
	v_mov_b32_e32 v12, 0
	v_mov_b32_e32 v15, 0
	;; [unrolled: 1-line block ×3, first 2 shown]
	s_and_b32 s10, s31, 3
	s_cmp_eq_u32 s10, 0
	s_cbranch_scc1 .LBB11_596
.LBB11_594:
	s_lshl_b32 s6, s30, 3
	s_add_u32 s6, s58, s6
	s_addc_u32 s7, s59, 0
	s_add_u32 s6, s6, 0xc4
	s_addc_u32 s7, s7, 0
	s_mul_i32 s8, s30, 12
	s_add_u32 s8, s58, s8
	s_addc_u32 s9, s59, 0
.LBB11_595:                             ; =>This Inner Loop Header: Depth=1
	s_load_dwordx2 s[12:13], s[8:9], 0x4
	s_load_dword s11, s[8:9], 0xc
	s_load_dwordx2 s[14:15], s[6:7], 0x0
	s_add_u32 s8, s8, 12
	s_addc_u32 s9, s9, 0
	s_waitcnt lgkmcnt(0)
	v_mul_hi_u32 v3, s13, v1
	s_add_u32 s6, s6, 8
	s_addc_u32 s7, s7, 0
	s_add_i32 s10, s10, -1
	v_add_u32_e32 v3, v1, v3
	v_lshrrev_b32_e32 v3, s11, v3
	v_mul_lo_u32 v4, v3, s12
	s_cmp_lg_u32 s10, 0
	v_sub_u32_e32 v1, v1, v4
	v_mad_u64_u32 v[12:13], s[12:13], v1, s14, v[12:13]
	v_mad_u64_u32 v[15:16], s[12:13], v1, s15, v[15:16]
	v_mov_b32_e32 v1, v3
	s_cbranch_scc1 .LBB11_595
.LBB11_596:
	s_cbranch_execnz .LBB11_599
.LBB11_597:
	s_load_dwordx4 s[8:11], s[58:59], 0x4
	s_load_dwordx2 s[6:7], s[58:59], 0xc4
	s_cmp_lt_u32 s33, 2
	s_waitcnt lgkmcnt(0)
	v_mul_hi_u32 v1, s9, v0
	v_add_u32_e32 v1, v0, v1
	v_lshrrev_b32_e32 v1, s10, v1
	v_mul_lo_u32 v3, v1, s8
	v_sub_u32_e32 v0, v0, v3
	v_mul_lo_u32 v12, v0, s6
	v_mul_lo_u32 v15, v0, s7
	s_cbranch_scc1 .LBB11_599
; %bb.598:
	s_load_dwordx4 s[8:11], s[58:59], 0x10
	s_load_dwordx2 s[6:7], s[58:59], 0xcc
	s_waitcnt lgkmcnt(0)
	v_mul_hi_u32 v0, s9, v1
	v_add_u32_e32 v0, v1, v0
	v_lshrrev_b32_e32 v0, s10, v0
	v_mul_lo_u32 v0, v0, s8
	v_sub_u32_e32 v0, v1, v0
	v_mad_u64_u32 v[12:13], s[8:9], v0, s6, v[12:13]
	v_mad_u64_u32 v[15:16], s[6:7], v0, s7, v[15:16]
.LBB11_599:
	s_and_b64 vcc, exec, s[4:5]
	v_add_u32_e32 v0, 0x100, v41
	buffer_store_dword v12, off, s[0:3], 0 offset:16 ; 4-byte Folded Spill
	s_nop 0
	buffer_store_dword v13, off, s[0:3], 0 offset:20 ; 4-byte Folded Spill
	s_cbranch_vccnz .LBB11_605
; %bb.600:
	s_cmp_lg_u32 s33, 0
	s_mov_b32 s30, 0
	s_cbranch_scc0 .LBB11_606
; %bb.601:
	s_min_u32 s31, s88, 15
	s_add_i32 s31, s31, 1
	s_cmp_eq_u32 s88, 2
	s_cbranch_scc1 .LBB11_607
; %bb.602:
	s_and_b32 s30, s31, 28
	s_add_u32 s6, s58, 0xc4
	s_addc_u32 s7, s59, 0
	v_mov_b32_e32 v16, 0
	s_mov_b32 s36, 0
	s_mov_b64 s[28:29], s[58:59]
	v_mov_b32_e32 v13, 0
	v_mov_b32_e32 v1, v0
.LBB11_603:                             ; =>This Inner Loop Header: Depth=1
	s_load_dwordx8 s[16:23], s[28:29], 0x4
	s_load_dwordx4 s[24:27], s[28:29], 0x24
	s_load_dwordx8 s[8:15], s[6:7], 0x0
	s_add_u32 s28, s28, 48
	s_addc_u32 s29, s29, 0
	s_waitcnt lgkmcnt(0)
	v_mul_hi_u32 v3, s17, v1
	s_add_i32 s36, s36, 4
	s_add_u32 s6, s6, 32
	s_addc_u32 s7, s7, 0
	v_add_u32_e32 v3, v1, v3
	v_lshrrev_b32_e32 v3, s18, v3
	v_mul_lo_u32 v4, v3, s16
	v_mul_hi_u32 v5, s20, v3
	s_cmp_lg_u32 s30, s36
	v_sub_u32_e32 v1, v1, v4
	v_add_u32_e32 v4, v3, v5
	v_mul_lo_u32 v5, v1, s8
	v_mul_lo_u32 v7, v1, s9
	v_lshrrev_b32_e32 v1, s21, v4
	v_mul_lo_u32 v4, v1, s19
	v_mul_hi_u32 v8, s23, v1
	v_sub_u32_e32 v3, v3, v4
	v_add_u32_e32 v4, v1, v8
	v_lshrrev_b32_e32 v4, s24, v4
	v_mul_hi_u32 v9, s26, v4
	v_mul_lo_u32 v10, v4, s22
	v_mul_lo_u32 v8, v3, s10
	;; [unrolled: 1-line block ×3, first 2 shown]
	v_sub_u32_e32 v10, v1, v10
	v_add_u32_e32 v1, v4, v9
	v_lshrrev_b32_e32 v1, s27, v1
	v_mul_lo_u32 v9, v1, s25
	v_mul_lo_u32 v11, v10, s12
	;; [unrolled: 1-line block ×3, first 2 shown]
	v_add3_u32 v5, v5, v13, v8
	v_sub_u32_e32 v4, v4, v9
	v_mul_lo_u32 v9, v4, s14
	v_mul_lo_u32 v4, v4, s15
	v_add3_u32 v3, v7, v16, v3
	v_add3_u32 v13, v11, v5, v9
	;; [unrolled: 1-line block ×3, first 2 shown]
	s_cbranch_scc1 .LBB11_603
; %bb.604:
	s_and_b32 s10, s31, 3
	s_cmp_eq_u32 s10, 0
	s_cbranch_scc0 .LBB11_608
	s_branch .LBB11_610
.LBB11_605:
                                        ; implicit-def: $vgpr13
                                        ; implicit-def: $vgpr16
	s_branch .LBB11_611
.LBB11_606:
	v_mov_b32_e32 v13, 0
	v_mov_b32_e32 v16, 0
	s_branch .LBB11_610
.LBB11_607:
	v_mov_b32_e32 v13, 0
	v_mov_b32_e32 v16, 0
	;; [unrolled: 1-line block ×3, first 2 shown]
	s_and_b32 s10, s31, 3
	s_cmp_eq_u32 s10, 0
	s_cbranch_scc1 .LBB11_610
.LBB11_608:
	s_lshl_b32 s6, s30, 3
	s_add_u32 s6, s58, s6
	s_addc_u32 s7, s59, 0
	s_add_u32 s6, s6, 0xc4
	s_addc_u32 s7, s7, 0
	s_mul_i32 s8, s30, 12
	s_add_u32 s8, s58, s8
	s_addc_u32 s9, s59, 0
.LBB11_609:                             ; =>This Inner Loop Header: Depth=1
	s_load_dwordx2 s[12:13], s[8:9], 0x4
	s_load_dword s11, s[8:9], 0xc
	s_load_dwordx2 s[14:15], s[6:7], 0x0
	s_add_u32 s8, s8, 12
	s_addc_u32 s9, s9, 0
	s_waitcnt lgkmcnt(0)
	v_mul_hi_u32 v3, s13, v1
	s_add_u32 s6, s6, 8
	s_addc_u32 s7, s7, 0
	s_add_i32 s10, s10, -1
	v_add_u32_e32 v3, v1, v3
	v_lshrrev_b32_e32 v3, s11, v3
	v_mul_lo_u32 v4, v3, s12
	s_cmp_lg_u32 s10, 0
	v_sub_u32_e32 v1, v1, v4
	v_mad_u64_u32 v[13:14], s[12:13], v1, s14, v[13:14]
	v_mad_u64_u32 v[16:17], s[12:13], v1, s15, v[16:17]
	v_mov_b32_e32 v1, v3
	s_cbranch_scc1 .LBB11_609
.LBB11_610:
	s_cbranch_execnz .LBB11_613
.LBB11_611:
	s_load_dwordx4 s[8:11], s[58:59], 0x4
	s_load_dwordx2 s[6:7], s[58:59], 0xc4
	s_cmp_lt_u32 s33, 2
	s_waitcnt lgkmcnt(0)
	v_mul_hi_u32 v1, s9, v0
	v_add_u32_e32 v1, v0, v1
	v_lshrrev_b32_e32 v1, s10, v1
	v_mul_lo_u32 v3, v1, s8
	v_sub_u32_e32 v0, v0, v3
	v_mul_lo_u32 v13, v0, s6
	v_mul_lo_u32 v16, v0, s7
	s_cbranch_scc1 .LBB11_613
; %bb.612:
	s_load_dwordx4 s[8:11], s[58:59], 0x10
	s_load_dwordx2 s[6:7], s[58:59], 0xcc
	s_waitcnt lgkmcnt(0)
	v_mul_hi_u32 v0, s9, v1
	v_add_u32_e32 v0, v1, v0
	v_lshrrev_b32_e32 v0, s10, v0
	v_mul_lo_u32 v0, v0, s8
	v_sub_u32_e32 v0, v1, v0
	v_mad_u64_u32 v[13:14], s[8:9], v0, s6, v[13:14]
	v_mad_u64_u32 v[16:17], s[6:7], v0, s7, v[16:17]
.LBB11_613:
	s_and_b64 vcc, exec, s[4:5]
	buffer_store_dword v15, off, s[0:3], 0 offset:48 ; 4-byte Folded Spill
	s_nop 0
	buffer_store_dword v16, off, s[0:3], 0 offset:52 ; 4-byte Folded Spill
	buffer_store_dword v16, off, s[0:3], 0 offset:64 ; 4-byte Folded Spill
	s_nop 0
	buffer_store_dword v17, off, s[0:3], 0 offset:68 ; 4-byte Folded Spill
	s_cbranch_vccnz .LBB11_619
; %bb.614:
	s_cmp_lg_u32 s33, 0
	s_mov_b32 s28, 0
	s_cbranch_scc0 .LBB11_620
; %bb.615:
	s_min_u32 s29, s88, 15
	s_add_i32 s29, s29, 1
	s_cmp_eq_u32 s88, 2
	s_cbranch_scc1 .LBB11_621
; %bb.616:
	s_and_b32 s28, s29, 28
	s_add_u32 s24, s58, 0xc4
	s_addc_u32 s25, s59, 0
	v_mov_b32_e32 v62, 0
	s_mov_b32 s30, 0
	s_mov_b64 s[26:27], s[58:59]
	v_mov_b32_e32 v11, 0
	v_mov_b32_e32 v0, v6
.LBB11_617:                             ; =>This Inner Loop Header: Depth=1
	s_load_dwordx8 s[12:19], s[26:27], 0x4
	s_load_dwordx4 s[20:23], s[26:27], 0x24
	s_load_dwordx8 s[4:11], s[24:25], 0x0
	s_add_u32 s26, s26, 48
	s_addc_u32 s27, s27, 0
	s_waitcnt lgkmcnt(0)
	v_mul_hi_u32 v1, s13, v0
	s_add_i32 s30, s30, 4
	s_add_u32 s24, s24, 32
	s_addc_u32 s25, s25, 0
	v_add_u32_e32 v1, v0, v1
	v_lshrrev_b32_e32 v1, s14, v1
	v_mul_lo_u32 v3, v1, s12
	v_mul_hi_u32 v4, s16, v1
	s_cmp_lg_u32 s28, s30
	v_sub_u32_e32 v0, v0, v3
	v_add_u32_e32 v3, v1, v4
	v_mul_lo_u32 v4, v0, s4
	v_mul_lo_u32 v5, v0, s5
	v_lshrrev_b32_e32 v0, s17, v3
	v_mul_lo_u32 v3, v0, s15
	v_mul_hi_u32 v7, s19, v0
	v_sub_u32_e32 v1, v1, v3
	v_add_u32_e32 v3, v0, v7
	v_lshrrev_b32_e32 v3, s20, v3
	v_mul_hi_u32 v8, s22, v3
	v_mul_lo_u32 v9, v3, s18
	v_mul_lo_u32 v7, v1, s6
	;; [unrolled: 1-line block ×3, first 2 shown]
	v_sub_u32_e32 v9, v0, v9
	v_add_u32_e32 v0, v3, v8
	v_lshrrev_b32_e32 v0, s23, v0
	v_mul_lo_u32 v8, v0, s21
	v_mul_lo_u32 v10, v9, s8
	;; [unrolled: 1-line block ×3, first 2 shown]
	v_add3_u32 v4, v4, v11, v7
	v_sub_u32_e32 v3, v3, v8
	v_mul_lo_u32 v8, v3, s10
	v_mul_lo_u32 v3, v3, s11
	v_add3_u32 v1, v5, v62, v1
	v_add3_u32 v11, v10, v4, v8
	;; [unrolled: 1-line block ×3, first 2 shown]
	s_cbranch_scc1 .LBB11_617
; %bb.618:
	s_and_b32 s8, s29, 3
	s_cmp_eq_u32 s8, 0
	s_cbranch_scc0 .LBB11_622
	s_branch .LBB11_624
.LBB11_619:
                                        ; implicit-def: $vgpr11
                                        ; implicit-def: $vgpr62
	s_branch .LBB11_625
.LBB11_620:
	v_mov_b32_e32 v11, 0
	v_mov_b32_e32 v62, 0
	s_branch .LBB11_624
.LBB11_621:
	v_mov_b32_e32 v11, 0
	v_mov_b32_e32 v62, 0
	;; [unrolled: 1-line block ×3, first 2 shown]
	s_and_b32 s8, s29, 3
	s_cmp_eq_u32 s8, 0
	s_cbranch_scc1 .LBB11_624
.LBB11_622:
	s_lshl_b32 s4, s28, 3
	s_add_u32 s4, s58, s4
	s_addc_u32 s5, s59, 0
	s_add_u32 s4, s4, 0xc4
	s_addc_u32 s5, s5, 0
	s_mul_i32 s6, s28, 12
	s_add_u32 s6, s58, s6
	s_addc_u32 s7, s59, 0
.LBB11_623:                             ; =>This Inner Loop Header: Depth=1
	s_load_dwordx2 s[10:11], s[6:7], 0x4
	s_load_dword s9, s[6:7], 0xc
	s_load_dwordx2 s[12:13], s[4:5], 0x0
	s_add_u32 s6, s6, 12
	s_addc_u32 s7, s7, 0
	s_waitcnt lgkmcnt(0)
	v_mul_hi_u32 v1, s11, v0
	s_add_u32 s4, s4, 8
	s_addc_u32 s5, s5, 0
	s_add_i32 s8, s8, -1
	v_add_u32_e32 v1, v0, v1
	v_lshrrev_b32_e32 v1, s9, v1
	v_mul_lo_u32 v3, v1, s10
	s_cmp_lg_u32 s8, 0
	v_sub_u32_e32 v0, v0, v3
	v_mad_u64_u32 v[11:12], s[10:11], v0, s12, v[11:12]
	v_mad_u64_u32 v[62:63], s[10:11], v0, s13, v[62:63]
	v_mov_b32_e32 v0, v1
	s_cbranch_scc1 .LBB11_623
.LBB11_624:
	s_cbranch_execnz .LBB11_627
.LBB11_625:
	s_load_dwordx4 s[4:7], s[58:59], 0x4
	s_load_dwordx2 s[8:9], s[58:59], 0xc4
	s_cmp_lt_u32 s33, 2
	s_waitcnt lgkmcnt(0)
	v_mul_hi_u32 v0, s5, v6
	v_add_u32_e32 v0, v6, v0
	v_lshrrev_b32_e32 v0, s6, v0
	v_mul_lo_u32 v1, v0, s4
	v_sub_u32_e32 v1, v6, v1
	v_mul_lo_u32 v11, v1, s8
	v_mul_lo_u32 v62, v1, s9
	s_cbranch_scc1 .LBB11_627
; %bb.626:
	s_load_dwordx4 s[4:7], s[58:59], 0x10
	s_load_dwordx2 s[8:9], s[58:59], 0xcc
	s_waitcnt lgkmcnt(0)
	v_mul_hi_u32 v1, s5, v0
	v_add_u32_e32 v1, v0, v1
	v_lshrrev_b32_e32 v1, s6, v1
	v_mul_lo_u32 v1, v1, s4
	v_sub_u32_e32 v0, v0, v1
	v_mad_u64_u32 v[11:12], s[4:5], v0, s8, v[11:12]
	v_mad_u64_u32 v[62:63], s[4:5], v0, s9, v[62:63]
.LBB11_627:
	buffer_store_dword v13, off, s[0:3], 0 offset:8 ; 4-byte Folded Spill
	s_nop 0
	buffer_store_dword v14, off, s[0:3], 0 offset:12 ; 4-byte Folded Spill
	buffer_store_dword v11, off, s[0:3], 0  ; 4-byte Folded Spill
	s_nop 0
	buffer_store_dword v12, off, s[0:3], 0 offset:4 ; 4-byte Folded Spill
	s_load_dword s33, s[34:35], 0x160
	s_load_dwordx4 s[36:39], s[58:59], 0x148
	s_getpc_b64 s[34:35]
	s_add_u32 s34, s34, _ZN2at6native6invokeIZZZNS0_12_GLOBAL__N_121bessel_y0_kernel_cudaERNS_18TensorIteratorBaseEENKUlvE_clEvENKUlvE_clEvEUldE_j15function_traitsIS7_EEENT1_11result_typeERKT_PrKPcPKT0_PKN3c1010ScalarTypeEi@rel32@lo+4
	s_addc_u32 s35, s35, _ZN2at6native6invokeIZZZNS0_12_GLOBAL__N_121bessel_y0_kernel_cudaERNS_18TensorIteratorBaseEENKUlvE_clEvENKUlvE_clEvEUldE_j15function_traitsIS7_EEENT1_11result_typeERKT_PrKPcPKT0_PKN3c1010ScalarTypeEi@rel32@hi+12
	s_waitcnt lgkmcnt(0)
	s_lshr_b32 s52, s33, 16
	v_mov_b32_e32 v0, s38
	v_mov_b32_e32 v1, s39
	;; [unrolled: 1-line block ×3, first 2 shown]
	s_swappc_b64 s[30:31], s[34:35]
	buffer_store_dword v0, off, s[0:3], 0 offset:32 ; 4-byte Folded Spill
	s_nop 0
	buffer_store_dword v1, off, s[0:3], 0 offset:36 ; 4-byte Folded Spill
	buffer_store_dword v2, off, s[0:3], 0 offset:40 ; 4-byte Folded Spill
	;; [unrolled: 1-line block ×3, first 2 shown]
	buffer_load_dword v2, off, s[0:3], 0 offset:48 ; 4-byte Folded Reload
	s_nop 0
	buffer_load_dword v3, off, s[0:3], 0 offset:52 ; 4-byte Folded Reload
	v_mov_b32_e32 v0, s38
	v_mov_b32_e32 v1, s39
	s_waitcnt vmcnt(0)
	v_mov_b32_e32 v3, s52
	s_swappc_b64 s[30:31], s[34:35]
	buffer_store_dword v0, off, s[0:3], 0 offset:48 ; 4-byte Folded Spill
	s_nop 0
	buffer_store_dword v1, off, s[0:3], 0 offset:52 ; 4-byte Folded Spill
	buffer_store_dword v2, off, s[0:3], 0 offset:56 ; 4-byte Folded Spill
	;; [unrolled: 1-line block ×3, first 2 shown]
	buffer_load_dword v2, off, s[0:3], 0 offset:64 ; 4-byte Folded Reload
	s_nop 0
	buffer_load_dword v3, off, s[0:3], 0 offset:68 ; 4-byte Folded Reload
	v_mov_b32_e32 v0, s38
	v_mov_b32_e32 v1, s39
	s_waitcnt vmcnt(0)
	v_mov_b32_e32 v3, s52
	s_swappc_b64 s[30:31], s[34:35]
	buffer_store_dword v0, off, s[0:3], 0 offset:64 ; 4-byte Folded Spill
	s_nop 0
	buffer_store_dword v1, off, s[0:3], 0 offset:68 ; 4-byte Folded Spill
	buffer_store_dword v2, off, s[0:3], 0 offset:72 ; 4-byte Folded Spill
	;; [unrolled: 1-line block ×3, first 2 shown]
	v_mov_b32_e32 v0, s38
	v_mov_b32_e32 v1, s39
	v_mov_b32_e32 v2, v62
	v_mov_b32_e32 v3, s52
	s_swappc_b64 s[30:31], s[34:35]
	buffer_load_dword v4, off, s[0:3], 0 offset:24 ; 4-byte Folded Reload
	buffer_load_dword v5, off, s[0:3], 0 offset:28 ; 4-byte Folded Reload
	;; [unrolled: 1-line block ×4, first 2 shown]
	v_mov_b32_e32 v3, s37
	s_bfe_u32 s14, s33, 0x80008
	s_cmp_lt_i32 s14, 11
	s_waitcnt vmcnt(3)
	v_add_co_u32_e32 v2, vcc, s36, v4
	v_addc_co_u32_e32 v3, vcc, 0, v3, vcc
	s_cbranch_scc1 .LBB11_706
; %bb.628:
	buffer_load_dword v9, off, s[0:3], 0    ; 4-byte Folded Reload
	buffer_load_dword v10, off, s[0:3], 0 offset:4 ; 4-byte Folded Reload
	buffer_load_dword v10, off, s[0:3], 0 offset:8 ; 4-byte Folded Reload
	buffer_load_dword v11, off, s[0:3], 0 offset:12 ; 4-byte Folded Reload
	buffer_load_dword v13, off, s[0:3], 0 offset:32 ; 4-byte Folded Reload
	buffer_load_dword v14, off, s[0:3], 0 offset:36 ; 4-byte Folded Reload
	buffer_load_dword v15, off, s[0:3], 0 offset:40 ; 4-byte Folded Reload
	buffer_load_dword v16, off, s[0:3], 0 offset:44 ; 4-byte Folded Reload
	s_and_b32 s15, 0xffff, s14
	s_mov_b64 s[6:7], -1
	s_mov_b64 s[8:9], 0
	s_cmp_gt_i32 s15, 25
	s_mov_b64 s[10:11], 0
	s_mov_b64 s[4:5], 0
	s_cbranch_scc0 .LBB11_661
; %bb.629:
	s_cmp_gt_i32 s15, 28
	s_cbranch_scc0 .LBB11_644
; %bb.630:
	s_cmp_gt_i32 s15, 43
	s_cbranch_scc0 .LBB11_640
; %bb.631:
	s_cmp_gt_i32 s15, 45
	s_cbranch_scc0 .LBB11_634
; %bb.632:
	s_mov_b64 s[4:5], -1
	s_mov_b64 s[6:7], 0
	s_cmp_eq_u32 s15, 46
	s_cbranch_scc0 .LBB11_634
; %bb.633:
	s_waitcnt vmcnt(2)
	v_cvt_f32_f64_e32 v4, v[13:14]
	s_movk_i32 s4, 0x7fff
	v_mov_b32_e32 v5, 0x7fc0
	s_mov_b64 s[10:11], -1
	v_bfe_u32 v6, v4, 16, 1
	v_cmp_o_f32_e32 vcc, v4, v4
	v_add3_u32 v4, v4, v6, s4
	v_cndmask_b32_sdwa v4, v5, v4, vcc dst_sel:DWORD dst_unused:UNUSED_PAD src0_sel:DWORD src1_sel:WORD_1
	global_store_dword v[2:3], v4, off
	s_mov_b64 s[4:5], 0
.LBB11_634:
	s_and_b64 vcc, exec, s[6:7]
	s_cbranch_vccz .LBB11_639
; %bb.635:
	s_cmp_eq_u32 s15, 44
	s_mov_b64 s[4:5], -1
	s_cbranch_scc0 .LBB11_639
; %bb.636:
	s_waitcnt vmcnt(2)
	v_cvt_f32_f64_e32 v4, v[13:14]
	s_movk_i32 s4, 0xff
	v_mov_b32_e32 v6, 0xff
	v_bfe_u32 v5, v4, 23, 8
	v_cmp_ne_u32_e32 vcc, s4, v5
	s_and_saveexec_b64 s[6:7], vcc
; %bb.637:
	s_mov_b32 s4, 0x3fffff
	v_lshrrev_b32_e32 v6, 23, v4
	v_and_b32_e32 v7, 0x400000, v4
	v_and_or_b32 v4, v4, s4, v5
	v_cmp_ne_u32_e32 vcc, 0, v7
	v_cmp_ne_u32_e64 s[4:5], 0, v4
	s_and_b64 s[4:5], vcc, s[4:5]
	v_cndmask_b32_e64 v4, 0, 1, s[4:5]
	v_add_u32_e32 v6, v6, v4
; %bb.638:
	s_or_b64 exec, exec, s[6:7]
	s_mov_b64 s[4:5], 0
	s_mov_b64 s[10:11], -1
	global_store_byte v[2:3], v6, off
.LBB11_639:
	s_mov_b64 s[6:7], 0
.LBB11_640:
	s_and_b64 vcc, exec, s[6:7]
	s_cbranch_vccz .LBB11_643
; %bb.641:
	s_cmp_eq_u32 s15, 29
	s_mov_b64 s[4:5], -1
	s_cbranch_scc0 .LBB11_643
; %bb.642:
	s_waitcnt vmcnt(2)
	v_trunc_f64_e32 v[4:5], v[13:14]
	s_movk_i32 s4, 0xffe0
	s_mov_b64 s[10:11], -1
	v_ldexp_f64 v[6:7], v[4:5], s4
	s_mov_b32 s4, 0
	s_mov_b32 s5, 0xc1f00000
	v_floor_f64_e32 v[6:7], v[6:7]
	v_fma_f64 v[4:5], v[6:7], s[4:5], v[4:5]
	v_cvt_u32_f64_e32 v6, v[6:7]
	s_mov_b64 s[4:5], 0
	v_cvt_u32_f64_e32 v5, v[4:5]
	global_store_dwordx2 v[2:3], v[5:6], off
.LBB11_643:
	s_mov_b64 s[6:7], 0
.LBB11_644:
	s_and_b64 vcc, exec, s[6:7]
	s_cbranch_vccz .LBB11_660
; %bb.645:
	s_cmp_lt_i32 s15, 27
	s_mov_b64 s[6:7], -1
	s_cbranch_scc1 .LBB11_651
; %bb.646:
	s_cmp_gt_i32 s15, 27
	s_cbranch_scc0 .LBB11_648
; %bb.647:
	s_waitcnt vmcnt(2)
	v_cvt_u32_f64_e32 v4, v[13:14]
	s_mov_b64 s[6:7], 0
	global_store_dword v[2:3], v4, off
.LBB11_648:
	s_andn2_b64 vcc, exec, s[6:7]
	s_cbranch_vccnz .LBB11_650
; %bb.649:
	s_waitcnt vmcnt(2)
	v_cvt_u32_f64_e32 v4, v[13:14]
	global_store_short v[2:3], v4, off
.LBB11_650:
	s_mov_b64 s[6:7], 0
.LBB11_651:
	s_andn2_b64 vcc, exec, s[6:7]
	s_cbranch_vccnz .LBB11_659
; %bb.652:
	s_waitcnt vmcnt(2)
	v_cvt_f32_f64_e32 v4, v[13:14]
	s_mov_b32 s6, 0x43800000
	v_mov_b32_e32 v6, 0x80
	v_and_b32_e32 v5, 0x7fffffff, v4
	v_cmp_gt_u32_e32 vcc, s6, v5
	s_and_saveexec_b64 s[6:7], vcc
	s_cbranch_execz .LBB11_658
; %bb.653:
	s_mov_b32 s10, 0x3bffffff
	v_cmp_lt_u32_e32 vcc, s10, v5
	s_mov_b64 s[10:11], 0
                                        ; implicit-def: $vgpr5
	s_and_saveexec_b64 s[12:13], vcc
	s_xor_b64 s[12:13], exec, s[12:13]
	s_cbranch_execz .LBB11_1103
; %bb.654:
	v_bfe_u32 v5, v4, 20, 1
	s_mov_b32 s16, 0x487ffff
	v_add3_u32 v5, v4, v5, s16
	s_mov_b64 s[10:11], exec
	v_lshrrev_b32_e32 v5, 20, v5
	s_andn2_saveexec_b64 s[12:13], s[12:13]
	s_cbranch_execnz .LBB11_1104
.LBB11_655:
	s_or_b64 exec, exec, s[12:13]
	v_mov_b32_e32 v6, 0
	s_and_saveexec_b64 s[12:13], s[10:11]
.LBB11_656:
	v_lshrrev_b32_e32 v4, 24, v4
	s_movk_i32 s10, 0x80
	v_and_or_b32 v6, v4, s10, v5
.LBB11_657:
	s_or_b64 exec, exec, s[12:13]
.LBB11_658:
	s_or_b64 exec, exec, s[6:7]
	global_store_byte v[2:3], v6, off
.LBB11_659:
	s_mov_b64 s[10:11], -1
.LBB11_660:
	s_mov_b64 s[6:7], 0
.LBB11_661:
	s_and_b64 vcc, exec, s[6:7]
	s_cbranch_vccz .LBB11_701
; %bb.662:
	s_cmp_gt_i32 s15, 22
	s_mov_b64 s[6:7], -1
	s_cbranch_scc0 .LBB11_694
; %bb.663:
	s_cmp_lt_i32 s15, 24
	s_cbranch_scc1 .LBB11_683
; %bb.664:
	s_cmp_gt_i32 s15, 24
	s_cbranch_scc0 .LBB11_672
; %bb.665:
	s_waitcnt vmcnt(2)
	v_cvt_f32_f64_e32 v4, v[13:14]
	s_mov_b32 s6, 0x47800000
	v_mov_b32_e32 v6, 0x80
	v_and_b32_e32 v5, 0x7fffffff, v4
	v_cmp_gt_u32_e32 vcc, s6, v5
	s_and_saveexec_b64 s[6:7], vcc
	s_cbranch_execz .LBB11_671
; %bb.666:
	s_mov_b32 s8, 0x37ffffff
	v_cmp_lt_u32_e32 vcc, s8, v5
	s_mov_b64 s[8:9], 0
                                        ; implicit-def: $vgpr5
	s_and_saveexec_b64 s[10:11], vcc
	s_xor_b64 s[10:11], exec, s[10:11]
	s_cbranch_execz .LBB11_1106
; %bb.667:
	v_bfe_u32 v5, v4, 21, 1
	s_mov_b32 s12, 0x88fffff
	v_add3_u32 v5, v4, v5, s12
	s_mov_b64 s[8:9], exec
	v_lshrrev_b32_e32 v5, 21, v5
	s_andn2_saveexec_b64 s[10:11], s[10:11]
	s_cbranch_execnz .LBB11_1107
.LBB11_668:
	s_or_b64 exec, exec, s[10:11]
	v_mov_b32_e32 v6, 0
	s_and_saveexec_b64 s[10:11], s[8:9]
.LBB11_669:
	v_lshrrev_b32_e32 v4, 24, v4
	s_movk_i32 s8, 0x80
	v_and_or_b32 v6, v4, s8, v5
.LBB11_670:
	s_or_b64 exec, exec, s[10:11]
.LBB11_671:
	s_or_b64 exec, exec, s[6:7]
	s_mov_b64 s[6:7], 0
	global_store_byte v[2:3], v6, off
.LBB11_672:
	s_and_b64 vcc, exec, s[6:7]
	s_cbranch_vccz .LBB11_682
; %bb.673:
	s_waitcnt vmcnt(2)
	v_cvt_f32_f64_e32 v4, v[13:14]
	s_mov_b32 s6, 0x43f00000
                                        ; implicit-def: $vgpr5
	v_and_b32_e32 v6, 0x7fffffff, v4
	v_cmp_gt_u32_e32 vcc, s6, v6
	s_and_saveexec_b64 s[6:7], vcc
	s_xor_b64 s[6:7], exec, s[6:7]
	s_cbranch_execz .LBB11_679
; %bb.674:
	s_mov_b32 s8, 0x3c7fffff
	v_cmp_lt_u32_e32 vcc, s8, v6
                                        ; implicit-def: $vgpr5
	s_and_saveexec_b64 s[8:9], vcc
	s_xor_b64 s[8:9], exec, s[8:9]
; %bb.675:
	v_bfe_u32 v5, v4, 20, 1
	s_mov_b32 s10, 0x407ffff
	v_add3_u32 v5, v4, v5, s10
	v_lshrrev_b32_e32 v6, 20, v5
	v_and_b32_e32 v5, 0xff00000, v5
	s_mov_b32 s10, 0x7f00000
	v_mov_b32_e32 v7, 0x7e
	v_cmp_ne_u32_e32 vcc, s10, v5
	v_cndmask_b32_e32 v5, v7, v6, vcc
; %bb.676:
	s_andn2_saveexec_b64 s[8:9], s[8:9]
; %bb.677:
	s_mov_b32 s10, 0x46800000
	v_add_f32_e64 v5, |v4|, s10
; %bb.678:
	s_or_b64 exec, exec, s[8:9]
                                        ; implicit-def: $vgpr6
.LBB11_679:
	s_andn2_saveexec_b64 s[6:7], s[6:7]
; %bb.680:
	s_mov_b32 s8, 0x7f800000
	v_mov_b32_e32 v5, 0x7e
	v_mov_b32_e32 v7, 0x7f
	v_cmp_lt_u32_e32 vcc, s8, v6
	v_cndmask_b32_e32 v5, v5, v7, vcc
; %bb.681:
	s_or_b64 exec, exec, s[6:7]
	v_lshrrev_b32_e32 v4, 24, v4
	s_movk_i32 s6, 0x80
	v_and_or_b32 v4, v4, s6, v5
	global_store_byte v[2:3], v4, off
.LBB11_682:
	s_mov_b64 s[6:7], 0
.LBB11_683:
	s_andn2_b64 vcc, exec, s[6:7]
	s_cbranch_vccnz .LBB11_693
; %bb.684:
	s_waitcnt vmcnt(2)
	v_cvt_f32_f64_e32 v4, v[13:14]
	s_mov_b32 s6, 0x47800000
                                        ; implicit-def: $vgpr5
	v_and_b32_e32 v6, 0x7fffffff, v4
	v_cmp_gt_u32_e32 vcc, s6, v6
	s_and_saveexec_b64 s[6:7], vcc
	s_xor_b64 s[6:7], exec, s[6:7]
	s_cbranch_execz .LBB11_690
; %bb.685:
	s_mov_b32 s8, 0x387fffff
	v_cmp_lt_u32_e32 vcc, s8, v6
                                        ; implicit-def: $vgpr5
	s_and_saveexec_b64 s[8:9], vcc
	s_xor_b64 s[8:9], exec, s[8:9]
; %bb.686:
	v_bfe_u32 v5, v4, 21, 1
	s_mov_b32 s10, 0x80fffff
	v_add3_u32 v5, v4, v5, s10
	v_lshrrev_b32_e32 v5, 21, v5
; %bb.687:
	s_andn2_saveexec_b64 s[8:9], s[8:9]
; %bb.688:
	s_mov_b32 s10, 0x43000000
	v_add_f32_e64 v5, |v4|, s10
; %bb.689:
	s_or_b64 exec, exec, s[8:9]
                                        ; implicit-def: $vgpr6
.LBB11_690:
	s_andn2_saveexec_b64 s[6:7], s[6:7]
; %bb.691:
	s_mov_b32 s8, 0x7f800000
	v_mov_b32_e32 v5, 0x7c
	v_mov_b32_e32 v7, 0x7f
	v_cmp_lt_u32_e32 vcc, s8, v6
	v_cndmask_b32_e32 v5, v5, v7, vcc
; %bb.692:
	s_or_b64 exec, exec, s[6:7]
	v_lshrrev_b32_e32 v4, 24, v4
	s_movk_i32 s6, 0x80
	v_and_or_b32 v4, v4, s6, v5
	global_store_byte v[2:3], v4, off
.LBB11_693:
	s_mov_b64 s[6:7], 0
	s_mov_b64 s[10:11], -1
.LBB11_694:
	s_andn2_b64 vcc, exec, s[6:7]
	s_mov_b64 s[8:9], 0
	s_cbranch_vccnz .LBB11_701
; %bb.695:
	s_cmp_gt_i32 s15, 14
	s_mov_b64 s[6:7], -1
	s_cbranch_scc0 .LBB11_699
; %bb.696:
	s_cmp_eq_u32 s15, 15
	s_mov_b64 s[4:5], -1
	s_cbranch_scc0 .LBB11_698
; %bb.697:
	s_waitcnt vmcnt(2)
	v_cvt_f32_f64_e32 v4, v[13:14]
	s_movk_i32 s4, 0x7fff
	v_mov_b32_e32 v5, 0x7fc0
	s_mov_b64 s[10:11], -1
	v_bfe_u32 v6, v4, 16, 1
	v_cmp_o_f32_e32 vcc, v4, v4
	v_add3_u32 v4, v4, v6, s4
	v_cndmask_b32_sdwa v4, v5, v4, vcc dst_sel:DWORD dst_unused:UNUSED_PAD src0_sel:DWORD src1_sel:WORD_1
	global_store_short v[2:3], v4, off
	s_mov_b64 s[4:5], 0
.LBB11_698:
	s_mov_b64 s[6:7], 0
.LBB11_699:
	s_and_b64 vcc, exec, s[6:7]
	s_cbranch_vccz .LBB11_701
; %bb.700:
	s_cmp_lg_u32 s15, 11
	s_mov_b64 s[8:9], -1
	s_cselect_b64 s[4:5], -1, 0
.LBB11_701:
	s_and_b64 vcc, exec, s[4:5]
	s_mov_b64 s[6:7], s[48:49]
	s_cbranch_vccnz .LBB11_1105
; %bb.702:
	s_andn2_b64 vcc, exec, s[8:9]
	s_cbranch_vccnz .LBB11_704
.LBB11_703:
	s_waitcnt vmcnt(2)
	v_cmp_neq_f64_e32 vcc, 0, v[13:14]
	s_mov_b64 s[10:11], -1
	v_cndmask_b32_e64 v4, 0, 1, vcc
	global_store_byte v[2:3], v4, off
.LBB11_704:
.LBB11_705:
	s_andn2_b64 vcc, exec, s[10:11]
	s_cbranch_vccz .LBB11_745
	s_branch .LBB11_1057
.LBB11_706:
	buffer_load_dword v9, off, s[0:3], 0    ; 4-byte Folded Reload
	buffer_load_dword v10, off, s[0:3], 0 offset:4 ; 4-byte Folded Reload
	buffer_load_dword v10, off, s[0:3], 0 offset:8 ; 4-byte Folded Reload
	;; [unrolled: 1-line block ×7, first 2 shown]
	s_mov_b64 s[10:11], 0
	s_mov_b64 s[6:7], s[48:49]
	s_cbranch_execz .LBB11_705
; %bb.707:
	s_and_b32 s8, 0xffff, s14
	s_cmp_lt_i32 s8, 5
	s_mov_b64 s[4:5], -1
	s_cbranch_scc1 .LBB11_728
; %bb.708:
	s_cmp_lt_i32 s8, 8
	s_cbranch_scc1 .LBB11_718
; %bb.709:
	s_cmp_lt_i32 s8, 9
	s_cbranch_scc1 .LBB11_715
; %bb.710:
	s_cmp_gt_i32 s8, 9
	s_cbranch_scc0 .LBB11_712
; %bb.711:
	s_waitcnt vmcnt(1)
	v_mov_b32_e32 v15, 0
	s_waitcnt vmcnt(0)
	v_mov_b32_e32 v16, v15
	global_store_dwordx4 v[2:3], v[13:16], off
	s_mov_b64 s[4:5], 0
.LBB11_712:
	s_andn2_b64 vcc, exec, s[4:5]
	s_cbranch_vccnz .LBB11_714
; %bb.713:
	s_waitcnt vmcnt(2)
	v_cvt_f32_f64_e32 v4, v[13:14]
	v_mov_b32_e32 v5, 0
	global_store_dwordx2 v[2:3], v[4:5], off
.LBB11_714:
	s_mov_b64 s[4:5], 0
.LBB11_715:
	s_andn2_b64 vcc, exec, s[4:5]
	s_cbranch_vccnz .LBB11_717
; %bb.716:
	s_movk_i32 s4, 0x1ff
	s_waitcnt vmcnt(2)
	v_and_or_b32 v4, v14, s4, v13
	v_cmp_ne_u32_e32 vcc, 0, v4
	v_cndmask_b32_e64 v4, 0, 1, vcc
	v_lshrrev_b32_e32 v5, 8, v14
	s_movk_i32 s4, 0xffe
	v_bfe_u32 v6, v14, 20, 11
	v_and_or_b32 v4, v5, s4, v4
	v_sub_u32_e32 v7, 0x3f1, v6
	v_or_b32_e32 v5, 0x1000, v4
	v_med3_i32 v7, v7, 0, 13
	v_lshrrev_b32_e32 v8, v7, v5
	v_lshlrev_b32_e32 v7, v7, v8
	v_cmp_ne_u32_e32 vcc, v7, v5
	v_cndmask_b32_e64 v5, 0, 1, vcc
	v_add_u32_e32 v6, 0xfffffc10, v6
	v_or_b32_e32 v5, v8, v5
	v_lshl_or_b32 v7, v6, 12, v4
	v_cmp_gt_i32_e32 vcc, 1, v6
	v_cndmask_b32_e32 v5, v7, v5, vcc
	v_and_b32_e32 v7, 7, v5
	v_cmp_lt_i32_e32 vcc, 5, v7
	v_cndmask_b32_e64 v8, 0, 1, vcc
	v_cmp_eq_u32_e32 vcc, 3, v7
	v_cndmask_b32_e64 v7, 0, 1, vcc
	v_or_b32_e32 v7, v7, v8
	v_lshrrev_b32_e32 v5, 2, v5
	v_add_u32_e32 v5, v5, v7
	v_mov_b32_e32 v7, 0x7c00
	v_cmp_gt_i32_e32 vcc, 31, v6
	v_cndmask_b32_e32 v5, v7, v5, vcc
	v_mov_b32_e32 v8, 0x7e00
	v_cmp_ne_u32_e32 vcc, 0, v4
	s_movk_i32 s4, 0x40f
	v_cndmask_b32_e32 v4, v7, v8, vcc
	v_cmp_eq_u32_e32 vcc, s4, v6
	v_cndmask_b32_e32 v4, v5, v4, vcc
	v_lshrrev_b32_e32 v5, 16, v14
	s_mov_b32 s4, 0x8000
	v_and_or_b32 v4, v5, s4, v4
	v_and_b32_e32 v4, 0xffff, v4
	global_store_dword v[2:3], v4, off
.LBB11_717:
	s_mov_b64 s[4:5], 0
.LBB11_718:
	s_andn2_b64 vcc, exec, s[4:5]
	s_cbranch_vccnz .LBB11_727
; %bb.719:
	s_cmp_lt_i32 s8, 6
	s_mov_b64 s[4:5], -1
	s_cbranch_scc1 .LBB11_725
; %bb.720:
	s_cmp_gt_i32 s8, 6
	s_cbranch_scc0 .LBB11_722
; %bb.721:
	s_waitcnt vmcnt(2)
	global_store_dwordx2 v[2:3], v[13:14], off
	s_mov_b64 s[4:5], 0
.LBB11_722:
	s_andn2_b64 vcc, exec, s[4:5]
	s_cbranch_vccnz .LBB11_724
; %bb.723:
	s_waitcnt vmcnt(2)
	v_cvt_f32_f64_e32 v4, v[13:14]
	global_store_dword v[2:3], v4, off
.LBB11_724:
	s_mov_b64 s[4:5], 0
.LBB11_725:
	s_andn2_b64 vcc, exec, s[4:5]
	s_cbranch_vccnz .LBB11_727
; %bb.726:
	s_movk_i32 s4, 0x1ff
	s_waitcnt vmcnt(2)
	v_and_or_b32 v4, v14, s4, v13
	v_cmp_ne_u32_e32 vcc, 0, v4
	v_cndmask_b32_e64 v4, 0, 1, vcc
	v_lshrrev_b32_e32 v5, 8, v14
	s_movk_i32 s4, 0xffe
	v_bfe_u32 v6, v14, 20, 11
	v_and_or_b32 v4, v5, s4, v4
	v_sub_u32_e32 v7, 0x3f1, v6
	v_or_b32_e32 v5, 0x1000, v4
	v_med3_i32 v7, v7, 0, 13
	v_lshrrev_b32_e32 v8, v7, v5
	v_lshlrev_b32_e32 v7, v7, v8
	v_cmp_ne_u32_e32 vcc, v7, v5
	v_cndmask_b32_e64 v5, 0, 1, vcc
	v_add_u32_e32 v6, 0xfffffc10, v6
	v_or_b32_e32 v5, v8, v5
	v_lshl_or_b32 v7, v6, 12, v4
	v_cmp_gt_i32_e32 vcc, 1, v6
	v_cndmask_b32_e32 v5, v7, v5, vcc
	v_and_b32_e32 v7, 7, v5
	v_cmp_lt_i32_e32 vcc, 5, v7
	v_cndmask_b32_e64 v8, 0, 1, vcc
	v_cmp_eq_u32_e32 vcc, 3, v7
	v_cndmask_b32_e64 v7, 0, 1, vcc
	v_or_b32_e32 v7, v7, v8
	v_lshrrev_b32_e32 v5, 2, v5
	v_add_u32_e32 v5, v5, v7
	v_mov_b32_e32 v7, 0x7c00
	v_cmp_gt_i32_e32 vcc, 31, v6
	v_cndmask_b32_e32 v5, v7, v5, vcc
	v_mov_b32_e32 v8, 0x7e00
	v_cmp_ne_u32_e32 vcc, 0, v4
	s_movk_i32 s4, 0x40f
	v_cndmask_b32_e32 v4, v7, v8, vcc
	v_cmp_eq_u32_e32 vcc, s4, v6
	v_cndmask_b32_e32 v4, v5, v4, vcc
	v_lshrrev_b32_e32 v5, 16, v14
	s_mov_b32 s4, 0x8000
	v_and_or_b32 v4, v5, s4, v4
	global_store_short v[2:3], v4, off
.LBB11_727:
	s_mov_b64 s[4:5], 0
.LBB11_728:
	s_andn2_b64 vcc, exec, s[4:5]
	s_cbranch_vccnz .LBB11_744
; %bb.729:
	s_cmp_lt_i32 s8, 2
	s_mov_b64 s[4:5], -1
	s_cbranch_scc1 .LBB11_739
; %bb.730:
	s_cmp_lt_i32 s8, 3
	s_cbranch_scc1 .LBB11_736
; %bb.731:
	s_cmp_gt_i32 s8, 3
	s_cbranch_scc0 .LBB11_733
; %bb.732:
	s_waitcnt vmcnt(2)
	v_trunc_f64_e32 v[4:5], v[13:14]
	s_movk_i32 s4, 0xffe0
	v_ldexp_f64 v[6:7], v[4:5], s4
	s_mov_b32 s4, 0
	s_mov_b32 s5, 0xc1f00000
	v_floor_f64_e32 v[6:7], v[6:7]
	v_fma_f64 v[4:5], v[6:7], s[4:5], v[4:5]
	v_cvt_i32_f64_e32 v6, v[6:7]
	s_mov_b64 s[4:5], 0
	v_cvt_u32_f64_e32 v5, v[4:5]
	global_store_dwordx2 v[2:3], v[5:6], off
.LBB11_733:
	s_andn2_b64 vcc, exec, s[4:5]
	s_cbranch_vccnz .LBB11_735
; %bb.734:
	s_waitcnt vmcnt(2)
	v_cvt_i32_f64_e32 v4, v[13:14]
	global_store_dword v[2:3], v4, off
.LBB11_735:
	s_mov_b64 s[4:5], 0
.LBB11_736:
	s_andn2_b64 vcc, exec, s[4:5]
	s_cbranch_vccnz .LBB11_738
; %bb.737:
	s_waitcnt vmcnt(2)
	v_cvt_i32_f64_e32 v4, v[13:14]
	global_store_short v[2:3], v4, off
.LBB11_738:
	s_mov_b64 s[4:5], 0
.LBB11_739:
	s_andn2_b64 vcc, exec, s[4:5]
	s_cbranch_vccnz .LBB11_744
; %bb.740:
	s_cmp_gt_i32 s8, 0
	s_mov_b64 s[4:5], -1
	s_cbranch_scc0 .LBB11_742
; %bb.741:
	s_waitcnt vmcnt(2)
	v_cvt_i32_f64_e32 v4, v[13:14]
	s_mov_b64 s[4:5], 0
	global_store_byte v[2:3], v4, off
.LBB11_742:
	s_andn2_b64 vcc, exec, s[4:5]
	s_cbranch_vccnz .LBB11_744
; %bb.743:
	s_waitcnt vmcnt(2)
	v_trunc_f64_e32 v[4:5], v[13:14]
	s_movk_i32 s4, 0xffe0
	v_ldexp_f64 v[6:7], v[4:5], s4
	s_mov_b32 s4, 0
	s_mov_b32 s5, 0xc1f00000
	v_floor_f64_e32 v[6:7], v[6:7]
	v_fma_f64 v[4:5], v[6:7], s[4:5], v[4:5]
	v_cvt_u32_f64_e32 v4, v[4:5]
	global_store_byte v[2:3], v4, off
.LBB11_744:
.LBB11_745:
	s_lshr_b32 s4, s33, 8
	v_mov_b32_e32 v3, s37
	s_and_b32 s16, s4, 0xff
	s_waitcnt vmcnt(9)
	v_add_co_u32_e32 v2, vcc, s36, v12
	s_cmp_lt_i32 s16, 11
	v_addc_co_u32_e32 v3, vcc, 0, v3, vcc
	s_cbranch_scc1 .LBB11_824
; %bb.746:
	s_and_b32 s17, 0xffff, s16
	s_mov_b64 s[12:13], -1
	s_mov_b64 s[8:9], 0
	s_cmp_gt_i32 s17, 25
	s_mov_b64 s[10:11], 0
	s_mov_b64 s[4:5], 0
	s_cbranch_scc0 .LBB11_779
; %bb.747:
	s_cmp_gt_i32 s17, 28
	s_cbranch_scc0 .LBB11_762
; %bb.748:
	s_cmp_gt_i32 s17, 43
	;; [unrolled: 3-line block ×3, first 2 shown]
	s_cbranch_scc0 .LBB11_752
; %bb.750:
	s_mov_b64 s[4:5], -1
	s_mov_b64 s[12:13], 0
	s_cmp_eq_u32 s17, 46
	s_cbranch_scc0 .LBB11_752
; %bb.751:
	buffer_load_dword v4, off, s[0:3], 0 offset:48 ; 4-byte Folded Reload
	buffer_load_dword v5, off, s[0:3], 0 offset:52 ; 4-byte Folded Reload
	;; [unrolled: 1-line block ×4, first 2 shown]
	s_movk_i32 s4, 0x7fff
	s_mov_b64 s[10:11], -1
	s_waitcnt vmcnt(2)
	v_cvt_f32_f64_e32 v4, v[4:5]
	v_mov_b32_e32 v5, 0x7fc0
	s_waitcnt vmcnt(1)
	v_bfe_u32 v6, v4, 16, 1
	v_cmp_o_f32_e32 vcc, v4, v4
	v_add3_u32 v4, v4, v6, s4
	v_cndmask_b32_sdwa v4, v5, v4, vcc dst_sel:DWORD dst_unused:UNUSED_PAD src0_sel:DWORD src1_sel:WORD_1
	global_store_dword v[2:3], v4, off
	s_mov_b64 s[4:5], 0
.LBB11_752:
	s_and_b64 vcc, exec, s[12:13]
	s_cbranch_vccz .LBB11_757
; %bb.753:
	s_cmp_eq_u32 s17, 44
	s_mov_b64 s[4:5], -1
	s_cbranch_scc0 .LBB11_757
; %bb.754:
	buffer_load_dword v4, off, s[0:3], 0 offset:48 ; 4-byte Folded Reload
	buffer_load_dword v5, off, s[0:3], 0 offset:52 ; 4-byte Folded Reload
	;; [unrolled: 1-line block ×4, first 2 shown]
	s_movk_i32 s4, 0xff
	s_waitcnt vmcnt(1)
	v_mov_b32_e32 v6, 0xff
	v_cvt_f32_f64_e32 v4, v[4:5]
	v_bfe_u32 v5, v4, 23, 8
	v_cmp_ne_u32_e32 vcc, s4, v5
	s_and_saveexec_b64 s[10:11], vcc
	s_cbranch_execz .LBB11_756
; %bb.755:
	s_mov_b32 s4, 0x3fffff
	v_lshrrev_b32_e32 v6, 23, v4
	s_waitcnt vmcnt(0)
	v_and_b32_e32 v7, 0x400000, v4
	v_and_or_b32 v4, v4, s4, v5
	v_cmp_ne_u32_e32 vcc, 0, v7
	v_cmp_ne_u32_e64 s[4:5], 0, v4
	s_and_b64 s[4:5], vcc, s[4:5]
	v_cndmask_b32_e64 v4, 0, 1, s[4:5]
	v_add_u32_e32 v6, v6, v4
.LBB11_756:
	s_or_b64 exec, exec, s[10:11]
	s_mov_b64 s[4:5], 0
	s_mov_b64 s[10:11], -1
	global_store_byte v[2:3], v6, off
.LBB11_757:
	s_mov_b64 s[12:13], 0
.LBB11_758:
	s_and_b64 vcc, exec, s[12:13]
	s_cbranch_vccz .LBB11_761
; %bb.759:
	s_cmp_eq_u32 s17, 29
	s_mov_b64 s[4:5], -1
	s_cbranch_scc0 .LBB11_761
; %bb.760:
	buffer_load_dword v4, off, s[0:3], 0 offset:48 ; 4-byte Folded Reload
	buffer_load_dword v5, off, s[0:3], 0 offset:52 ; 4-byte Folded Reload
	buffer_load_dword v6, off, s[0:3], 0 offset:56 ; 4-byte Folded Reload
	buffer_load_dword v7, off, s[0:3], 0 offset:60 ; 4-byte Folded Reload
	s_movk_i32 s4, 0xffe0
	s_mov_b64 s[10:11], -1
	s_waitcnt vmcnt(2)
	v_trunc_f64_e32 v[4:5], v[4:5]
	s_waitcnt vmcnt(0)
	v_ldexp_f64 v[6:7], v[4:5], s4
	s_mov_b32 s4, 0
	s_mov_b32 s5, 0xc1f00000
	v_floor_f64_e32 v[6:7], v[6:7]
	v_fma_f64 v[4:5], v[6:7], s[4:5], v[4:5]
	v_cvt_u32_f64_e32 v6, v[6:7]
	s_mov_b64 s[4:5], 0
	v_cvt_u32_f64_e32 v5, v[4:5]
	global_store_dwordx2 v[2:3], v[5:6], off
.LBB11_761:
	s_mov_b64 s[12:13], 0
.LBB11_762:
	s_and_b64 vcc, exec, s[12:13]
	s_cbranch_vccz .LBB11_778
; %bb.763:
	s_cmp_lt_i32 s17, 27
	s_mov_b64 s[10:11], -1
	s_cbranch_scc1 .LBB11_769
; %bb.764:
	s_cmp_gt_i32 s17, 27
	s_cbranch_scc0 .LBB11_766
; %bb.765:
	buffer_load_dword v4, off, s[0:3], 0 offset:48 ; 4-byte Folded Reload
	buffer_load_dword v5, off, s[0:3], 0 offset:52 ; 4-byte Folded Reload
	;; [unrolled: 1-line block ×4, first 2 shown]
	s_mov_b64 s[10:11], 0
	s_waitcnt vmcnt(2)
	v_cvt_u32_f64_e32 v4, v[4:5]
	global_store_dword v[2:3], v4, off
.LBB11_766:
	s_andn2_b64 vcc, exec, s[10:11]
	s_cbranch_vccnz .LBB11_768
; %bb.767:
	buffer_load_dword v4, off, s[0:3], 0 offset:48 ; 4-byte Folded Reload
	buffer_load_dword v5, off, s[0:3], 0 offset:52 ; 4-byte Folded Reload
	buffer_load_dword v6, off, s[0:3], 0 offset:56 ; 4-byte Folded Reload
	buffer_load_dword v7, off, s[0:3], 0 offset:60 ; 4-byte Folded Reload
	s_waitcnt vmcnt(2)
	v_cvt_u32_f64_e32 v4, v[4:5]
	global_store_short v[2:3], v4, off
.LBB11_768:
	s_mov_b64 s[10:11], 0
.LBB11_769:
	s_andn2_b64 vcc, exec, s[10:11]
	s_cbranch_vccnz .LBB11_777
; %bb.770:
	buffer_load_dword v4, off, s[0:3], 0 offset:48 ; 4-byte Folded Reload
	buffer_load_dword v5, off, s[0:3], 0 offset:52 ; 4-byte Folded Reload
	;; [unrolled: 1-line block ×4, first 2 shown]
	s_mov_b32 s10, 0x43800000
	s_waitcnt vmcnt(1)
	v_mov_b32_e32 v6, 0x80
	v_cvt_f32_f64_e32 v4, v[4:5]
	v_and_b32_e32 v5, 0x7fffffff, v4
	v_cmp_gt_u32_e32 vcc, s10, v5
	s_and_saveexec_b64 s[10:11], vcc
	s_cbranch_execz .LBB11_776
; %bb.771:
	s_mov_b32 s12, 0x3bffffff
	v_cmp_lt_u32_e32 vcc, s12, v5
	s_mov_b64 s[12:13], 0
                                        ; implicit-def: $vgpr5
	s_and_saveexec_b64 s[14:15], vcc
	s_xor_b64 s[14:15], exec, s[14:15]
	s_cbranch_execz .LBB11_1108
; %bb.772:
	v_bfe_u32 v5, v4, 20, 1
	s_mov_b32 s18, 0x487ffff
	v_add3_u32 v5, v4, v5, s18
	s_mov_b64 s[12:13], exec
	v_lshrrev_b32_e32 v5, 20, v5
	s_andn2_saveexec_b64 s[14:15], s[14:15]
	s_cbranch_execnz .LBB11_1109
.LBB11_773:
	s_or_b64 exec, exec, s[14:15]
	v_mov_b32_e32 v6, 0
	s_and_saveexec_b64 s[14:15], s[12:13]
.LBB11_774:
	v_lshrrev_b32_e32 v4, 24, v4
	s_movk_i32 s12, 0x80
	v_and_or_b32 v6, v4, s12, v5
.LBB11_775:
	s_or_b64 exec, exec, s[14:15]
.LBB11_776:
	s_or_b64 exec, exec, s[10:11]
	global_store_byte v[2:3], v6, off
.LBB11_777:
	s_mov_b64 s[10:11], -1
.LBB11_778:
	s_mov_b64 s[12:13], 0
.LBB11_779:
	s_and_b64 vcc, exec, s[12:13]
	s_cbranch_vccz .LBB11_819
; %bb.780:
	s_cmp_gt_i32 s17, 22
	s_mov_b64 s[8:9], -1
	s_cbranch_scc0 .LBB11_812
; %bb.781:
	s_cmp_lt_i32 s17, 24
	s_cbranch_scc1 .LBB11_801
; %bb.782:
	s_cmp_gt_i32 s17, 24
	s_cbranch_scc0 .LBB11_790
; %bb.783:
	buffer_load_dword v4, off, s[0:3], 0 offset:48 ; 4-byte Folded Reload
	buffer_load_dword v5, off, s[0:3], 0 offset:52 ; 4-byte Folded Reload
	;; [unrolled: 1-line block ×4, first 2 shown]
	s_mov_b32 s8, 0x47800000
	s_waitcnt vmcnt(1)
	v_mov_b32_e32 v6, 0x80
	v_cvt_f32_f64_e32 v4, v[4:5]
	v_and_b32_e32 v5, 0x7fffffff, v4
	v_cmp_gt_u32_e32 vcc, s8, v5
	s_and_saveexec_b64 s[8:9], vcc
	s_cbranch_execz .LBB11_789
; %bb.784:
	s_mov_b32 s10, 0x37ffffff
	v_cmp_lt_u32_e32 vcc, s10, v5
	s_mov_b64 s[10:11], 0
                                        ; implicit-def: $vgpr5
	s_and_saveexec_b64 s[12:13], vcc
	s_xor_b64 s[12:13], exec, s[12:13]
	s_cbranch_execz .LBB11_1111
; %bb.785:
	v_bfe_u32 v5, v4, 21, 1
	s_mov_b32 s14, 0x88fffff
	v_add3_u32 v5, v4, v5, s14
	s_mov_b64 s[10:11], exec
	v_lshrrev_b32_e32 v5, 21, v5
	s_andn2_saveexec_b64 s[12:13], s[12:13]
	s_cbranch_execnz .LBB11_1112
.LBB11_786:
	s_or_b64 exec, exec, s[12:13]
	v_mov_b32_e32 v6, 0
	s_and_saveexec_b64 s[12:13], s[10:11]
.LBB11_787:
	v_lshrrev_b32_e32 v4, 24, v4
	s_movk_i32 s10, 0x80
	v_and_or_b32 v6, v4, s10, v5
.LBB11_788:
	s_or_b64 exec, exec, s[12:13]
.LBB11_789:
	s_or_b64 exec, exec, s[8:9]
	s_mov_b64 s[8:9], 0
	global_store_byte v[2:3], v6, off
.LBB11_790:
	s_and_b64 vcc, exec, s[8:9]
	s_cbranch_vccz .LBB11_800
; %bb.791:
	buffer_load_dword v4, off, s[0:3], 0 offset:48 ; 4-byte Folded Reload
	buffer_load_dword v5, off, s[0:3], 0 offset:52 ; 4-byte Folded Reload
	;; [unrolled: 1-line block ×4, first 2 shown]
	s_mov_b32 s8, 0x43f00000
	s_waitcnt vmcnt(2)
	v_cvt_f32_f64_e32 v4, v[4:5]
                                        ; implicit-def: $vgpr5
	s_waitcnt vmcnt(1)
	v_and_b32_e32 v6, 0x7fffffff, v4
	v_cmp_gt_u32_e32 vcc, s8, v6
	s_and_saveexec_b64 s[8:9], vcc
	s_xor_b64 s[8:9], exec, s[8:9]
	s_cbranch_execz .LBB11_797
; %bb.792:
	s_mov_b32 s10, 0x3c7fffff
	v_cmp_lt_u32_e32 vcc, s10, v6
                                        ; implicit-def: $vgpr5
	s_and_saveexec_b64 s[10:11], vcc
	s_xor_b64 s[10:11], exec, s[10:11]
	s_cbranch_execz .LBB11_794
; %bb.793:
	v_bfe_u32 v5, v4, 20, 1
	s_mov_b32 s12, 0x407ffff
	v_add3_u32 v5, v4, v5, s12
	v_lshrrev_b32_e32 v6, 20, v5
	v_and_b32_e32 v5, 0xff00000, v5
	s_mov_b32 s12, 0x7f00000
	s_waitcnt vmcnt(0)
	v_mov_b32_e32 v7, 0x7e
	v_cmp_ne_u32_e32 vcc, s12, v5
	v_cndmask_b32_e32 v5, v7, v6, vcc
.LBB11_794:
	s_andn2_saveexec_b64 s[10:11], s[10:11]
; %bb.795:
	s_mov_b32 s12, 0x46800000
	v_add_f32_e64 v5, |v4|, s12
; %bb.796:
	s_or_b64 exec, exec, s[10:11]
                                        ; implicit-def: $vgpr6
.LBB11_797:
	s_andn2_saveexec_b64 s[8:9], s[8:9]
	s_cbranch_execz .LBB11_799
; %bb.798:
	s_mov_b32 s10, 0x7f800000
	v_mov_b32_e32 v5, 0x7e
	s_waitcnt vmcnt(0)
	v_mov_b32_e32 v7, 0x7f
	v_cmp_lt_u32_e32 vcc, s10, v6
	v_cndmask_b32_e32 v5, v5, v7, vcc
.LBB11_799:
	s_or_b64 exec, exec, s[8:9]
	v_lshrrev_b32_e32 v4, 24, v4
	s_movk_i32 s8, 0x80
	v_and_or_b32 v4, v4, s8, v5
	global_store_byte v[2:3], v4, off
.LBB11_800:
	s_mov_b64 s[8:9], 0
.LBB11_801:
	s_andn2_b64 vcc, exec, s[8:9]
	s_cbranch_vccnz .LBB11_811
; %bb.802:
	buffer_load_dword v4, off, s[0:3], 0 offset:48 ; 4-byte Folded Reload
	buffer_load_dword v5, off, s[0:3], 0 offset:52 ; 4-byte Folded Reload
	;; [unrolled: 1-line block ×4, first 2 shown]
	s_mov_b32 s8, 0x47800000
	s_waitcnt vmcnt(2)
	v_cvt_f32_f64_e32 v4, v[4:5]
                                        ; implicit-def: $vgpr5
	s_waitcnt vmcnt(1)
	v_and_b32_e32 v6, 0x7fffffff, v4
	v_cmp_gt_u32_e32 vcc, s8, v6
	s_and_saveexec_b64 s[8:9], vcc
	s_xor_b64 s[8:9], exec, s[8:9]
	s_cbranch_execz .LBB11_808
; %bb.803:
	s_mov_b32 s10, 0x387fffff
	v_cmp_lt_u32_e32 vcc, s10, v6
                                        ; implicit-def: $vgpr5
	s_and_saveexec_b64 s[10:11], vcc
	s_xor_b64 s[10:11], exec, s[10:11]
; %bb.804:
	v_bfe_u32 v5, v4, 21, 1
	s_mov_b32 s12, 0x80fffff
	v_add3_u32 v5, v4, v5, s12
	v_lshrrev_b32_e32 v5, 21, v5
; %bb.805:
	s_andn2_saveexec_b64 s[10:11], s[10:11]
; %bb.806:
	s_mov_b32 s12, 0x43000000
	v_add_f32_e64 v5, |v4|, s12
; %bb.807:
	s_or_b64 exec, exec, s[10:11]
                                        ; implicit-def: $vgpr6
.LBB11_808:
	s_andn2_saveexec_b64 s[8:9], s[8:9]
	s_cbranch_execz .LBB11_810
; %bb.809:
	s_mov_b32 s10, 0x7f800000
	v_mov_b32_e32 v5, 0x7c
	s_waitcnt vmcnt(0)
	v_mov_b32_e32 v7, 0x7f
	v_cmp_lt_u32_e32 vcc, s10, v6
	v_cndmask_b32_e32 v5, v5, v7, vcc
.LBB11_810:
	s_or_b64 exec, exec, s[8:9]
	v_lshrrev_b32_e32 v4, 24, v4
	s_movk_i32 s8, 0x80
	v_and_or_b32 v4, v4, s8, v5
	global_store_byte v[2:3], v4, off
.LBB11_811:
	s_mov_b64 s[8:9], 0
	s_mov_b64 s[10:11], -1
.LBB11_812:
	s_andn2_b64 vcc, exec, s[8:9]
	s_mov_b64 s[8:9], 0
	s_cbranch_vccnz .LBB11_819
; %bb.813:
	s_cmp_gt_i32 s17, 14
	s_mov_b64 s[12:13], -1
	s_cbranch_scc0 .LBB11_817
; %bb.814:
	s_cmp_eq_u32 s17, 15
	s_mov_b64 s[4:5], -1
	s_cbranch_scc0 .LBB11_816
; %bb.815:
	buffer_load_dword v4, off, s[0:3], 0 offset:48 ; 4-byte Folded Reload
	buffer_load_dword v5, off, s[0:3], 0 offset:52 ; 4-byte Folded Reload
	buffer_load_dword v6, off, s[0:3], 0 offset:56 ; 4-byte Folded Reload
	buffer_load_dword v7, off, s[0:3], 0 offset:60 ; 4-byte Folded Reload
	s_movk_i32 s4, 0x7fff
	s_mov_b64 s[10:11], -1
	s_waitcnt vmcnt(2)
	v_cvt_f32_f64_e32 v4, v[4:5]
	v_mov_b32_e32 v5, 0x7fc0
	s_waitcnt vmcnt(1)
	v_bfe_u32 v6, v4, 16, 1
	v_cmp_o_f32_e32 vcc, v4, v4
	v_add3_u32 v4, v4, v6, s4
	v_cndmask_b32_sdwa v4, v5, v4, vcc dst_sel:DWORD dst_unused:UNUSED_PAD src0_sel:DWORD src1_sel:WORD_1
	global_store_short v[2:3], v4, off
	s_mov_b64 s[4:5], 0
.LBB11_816:
	s_mov_b64 s[12:13], 0
.LBB11_817:
	s_and_b64 vcc, exec, s[12:13]
	s_cbranch_vccz .LBB11_819
; %bb.818:
	s_cmp_lg_u32 s17, 11
	s_mov_b64 s[8:9], -1
	s_cselect_b64 s[4:5], -1, 0
.LBB11_819:
	s_and_b64 vcc, exec, s[4:5]
	s_cbranch_vccnz .LBB11_1110
; %bb.820:
	s_andn2_b64 vcc, exec, s[8:9]
	s_cbranch_vccnz .LBB11_822
.LBB11_821:
	buffer_load_dword v4, off, s[0:3], 0 offset:48 ; 4-byte Folded Reload
	buffer_load_dword v5, off, s[0:3], 0 offset:52 ; 4-byte Folded Reload
	;; [unrolled: 1-line block ×4, first 2 shown]
	s_mov_b64 s[10:11], -1
	s_waitcnt vmcnt(2)
	v_cmp_neq_f64_e32 vcc, 0, v[4:5]
	v_cndmask_b32_e64 v4, 0, 1, vcc
	global_store_byte v[2:3], v4, off
.LBB11_822:
.LBB11_823:
	s_andn2_b64 vcc, exec, s[10:11]
	s_cbranch_vccz .LBB11_863
	s_branch .LBB11_1057
.LBB11_824:
	s_mov_b64 s[10:11], 0
	s_cbranch_execz .LBB11_823
; %bb.825:
	s_and_b32 s8, 0xffff, s16
	s_cmp_lt_i32 s8, 5
	s_mov_b64 s[4:5], -1
	s_cbranch_scc1 .LBB11_846
; %bb.826:
	s_cmp_lt_i32 s8, 8
	s_cbranch_scc1 .LBB11_836
; %bb.827:
	s_cmp_lt_i32 s8, 9
	s_cbranch_scc1 .LBB11_833
; %bb.828:
	s_cmp_gt_i32 s8, 9
	s_cbranch_scc0 .LBB11_830
; %bb.829:
	buffer_load_dword v4, off, s[0:3], 0 offset:48 ; 4-byte Folded Reload
	buffer_load_dword v5, off, s[0:3], 0 offset:52 ; 4-byte Folded Reload
	;; [unrolled: 1-line block ×4, first 2 shown]
	s_waitcnt vmcnt(7)
	v_mov_b32_e32 v13, 0
	s_waitcnt vmcnt(6)
	v_mov_b32_e32 v14, v13
	s_mov_b64 s[4:5], 0
	s_waitcnt vmcnt(2)
	v_mov_b32_e32 v12, v5
	v_mov_b32_e32 v11, v4
	buffer_store_dword v4, off, s[0:3], 0 offset:48 ; 4-byte Folded Spill
	s_nop 0
	buffer_store_dword v5, off, s[0:3], 0 offset:52 ; 4-byte Folded Spill
	s_waitcnt vmcnt(3)
	buffer_store_dword v6, off, s[0:3], 0 offset:56 ; 4-byte Folded Spill
	s_waitcnt vmcnt(3)
	buffer_store_dword v7, off, s[0:3], 0 offset:60 ; 4-byte Folded Spill
	global_store_dwordx4 v[2:3], v[11:14], off
.LBB11_830:
	s_andn2_b64 vcc, exec, s[4:5]
	s_cbranch_vccnz .LBB11_832
; %bb.831:
	buffer_load_dword v4, off, s[0:3], 0 offset:48 ; 4-byte Folded Reload
	buffer_load_dword v5, off, s[0:3], 0 offset:52 ; 4-byte Folded Reload
	;; [unrolled: 1-line block ×4, first 2 shown]
	s_waitcnt vmcnt(2)
	v_cvt_f32_f64_e32 v4, v[4:5]
	v_mov_b32_e32 v5, 0
	global_store_dwordx2 v[2:3], v[4:5], off
.LBB11_832:
	s_mov_b64 s[4:5], 0
.LBB11_833:
	s_andn2_b64 vcc, exec, s[4:5]
	s_cbranch_vccnz .LBB11_835
; %bb.834:
	buffer_load_dword v4, off, s[0:3], 0 offset:48 ; 4-byte Folded Reload
	buffer_load_dword v5, off, s[0:3], 0 offset:52 ; 4-byte Folded Reload
	;; [unrolled: 1-line block ×4, first 2 shown]
	s_movk_i32 s4, 0x1ff
	s_waitcnt vmcnt(2)
	v_mov_b32_e32 v12, v5
	v_mov_b32_e32 v11, v4
	v_and_or_b32 v4, v12, s4, v11
	v_cmp_ne_u32_e32 vcc, 0, v4
	v_cndmask_b32_e64 v4, 0, 1, vcc
	v_lshrrev_b32_e32 v5, 8, v12
	s_movk_i32 s4, 0xffe
	s_waitcnt vmcnt(1)
	v_bfe_u32 v6, v12, 20, 11
	v_and_or_b32 v4, v5, s4, v4
	s_waitcnt vmcnt(0)
	v_sub_u32_e32 v7, 0x3f1, v6
	v_or_b32_e32 v5, 0x1000, v4
	v_med3_i32 v7, v7, 0, 13
	v_lshrrev_b32_e32 v8, v7, v5
	v_lshlrev_b32_e32 v7, v7, v8
	v_cmp_ne_u32_e32 vcc, v7, v5
	v_cndmask_b32_e64 v5, 0, 1, vcc
	v_add_u32_e32 v6, 0xfffffc10, v6
	v_or_b32_e32 v5, v8, v5
	v_lshl_or_b32 v7, v6, 12, v4
	v_cmp_gt_i32_e32 vcc, 1, v6
	v_cndmask_b32_e32 v5, v7, v5, vcc
	v_and_b32_e32 v7, 7, v5
	v_cmp_lt_i32_e32 vcc, 5, v7
	v_cndmask_b32_e64 v8, 0, 1, vcc
	v_cmp_eq_u32_e32 vcc, 3, v7
	v_cndmask_b32_e64 v7, 0, 1, vcc
	v_or_b32_e32 v7, v7, v8
	v_lshrrev_b32_e32 v5, 2, v5
	v_add_u32_e32 v5, v5, v7
	v_mov_b32_e32 v7, 0x7c00
	v_cmp_gt_i32_e32 vcc, 31, v6
	v_cndmask_b32_e32 v5, v7, v5, vcc
	v_mov_b32_e32 v8, 0x7e00
	v_cmp_ne_u32_e32 vcc, 0, v4
	s_movk_i32 s4, 0x40f
	v_cndmask_b32_e32 v4, v7, v8, vcc
	v_cmp_eq_u32_e32 vcc, s4, v6
	v_cndmask_b32_e32 v4, v5, v4, vcc
	v_lshrrev_b32_e32 v5, 16, v12
	s_mov_b32 s4, 0x8000
	v_and_or_b32 v4, v5, s4, v4
	v_and_b32_e32 v4, 0xffff, v4
	global_store_dword v[2:3], v4, off
.LBB11_835:
	s_mov_b64 s[4:5], 0
.LBB11_836:
	s_andn2_b64 vcc, exec, s[4:5]
	s_cbranch_vccnz .LBB11_845
; %bb.837:
	s_cmp_lt_i32 s8, 6
	s_mov_b64 s[4:5], -1
	s_cbranch_scc1 .LBB11_843
; %bb.838:
	s_cmp_gt_i32 s8, 6
	s_cbranch_scc0 .LBB11_840
; %bb.839:
	buffer_load_dword v4, off, s[0:3], 0 offset:48 ; 4-byte Folded Reload
	buffer_load_dword v5, off, s[0:3], 0 offset:52 ; 4-byte Folded Reload
	;; [unrolled: 1-line block ×4, first 2 shown]
	s_mov_b64 s[4:5], 0
	s_waitcnt vmcnt(2)
	global_store_dwordx2 v[2:3], v[4:5], off
.LBB11_840:
	s_andn2_b64 vcc, exec, s[4:5]
	s_cbranch_vccnz .LBB11_842
; %bb.841:
	buffer_load_dword v4, off, s[0:3], 0 offset:48 ; 4-byte Folded Reload
	buffer_load_dword v5, off, s[0:3], 0 offset:52 ; 4-byte Folded Reload
	;; [unrolled: 1-line block ×4, first 2 shown]
	s_waitcnt vmcnt(2)
	v_cvt_f32_f64_e32 v4, v[4:5]
	global_store_dword v[2:3], v4, off
.LBB11_842:
	s_mov_b64 s[4:5], 0
.LBB11_843:
	s_andn2_b64 vcc, exec, s[4:5]
	s_cbranch_vccnz .LBB11_845
; %bb.844:
	buffer_load_dword v4, off, s[0:3], 0 offset:48 ; 4-byte Folded Reload
	buffer_load_dword v5, off, s[0:3], 0 offset:52 ; 4-byte Folded Reload
	;; [unrolled: 1-line block ×4, first 2 shown]
	s_movk_i32 s4, 0x1ff
	s_waitcnt vmcnt(2)
	v_mov_b32_e32 v12, v5
	v_mov_b32_e32 v11, v4
	v_and_or_b32 v4, v12, s4, v11
	v_cmp_ne_u32_e32 vcc, 0, v4
	v_cndmask_b32_e64 v4, 0, 1, vcc
	v_lshrrev_b32_e32 v5, 8, v12
	s_movk_i32 s4, 0xffe
	s_waitcnt vmcnt(1)
	v_bfe_u32 v6, v12, 20, 11
	v_and_or_b32 v4, v5, s4, v4
	s_waitcnt vmcnt(0)
	v_sub_u32_e32 v7, 0x3f1, v6
	v_or_b32_e32 v5, 0x1000, v4
	v_med3_i32 v7, v7, 0, 13
	v_lshrrev_b32_e32 v8, v7, v5
	v_lshlrev_b32_e32 v7, v7, v8
	v_cmp_ne_u32_e32 vcc, v7, v5
	v_cndmask_b32_e64 v5, 0, 1, vcc
	v_add_u32_e32 v6, 0xfffffc10, v6
	v_or_b32_e32 v5, v8, v5
	v_lshl_or_b32 v7, v6, 12, v4
	v_cmp_gt_i32_e32 vcc, 1, v6
	v_cndmask_b32_e32 v5, v7, v5, vcc
	v_and_b32_e32 v7, 7, v5
	v_cmp_lt_i32_e32 vcc, 5, v7
	v_cndmask_b32_e64 v8, 0, 1, vcc
	v_cmp_eq_u32_e32 vcc, 3, v7
	v_cndmask_b32_e64 v7, 0, 1, vcc
	v_or_b32_e32 v7, v7, v8
	v_lshrrev_b32_e32 v5, 2, v5
	v_add_u32_e32 v5, v5, v7
	v_mov_b32_e32 v7, 0x7c00
	v_cmp_gt_i32_e32 vcc, 31, v6
	v_cndmask_b32_e32 v5, v7, v5, vcc
	v_mov_b32_e32 v8, 0x7e00
	v_cmp_ne_u32_e32 vcc, 0, v4
	s_movk_i32 s4, 0x40f
	v_cndmask_b32_e32 v4, v7, v8, vcc
	v_cmp_eq_u32_e32 vcc, s4, v6
	v_cndmask_b32_e32 v4, v5, v4, vcc
	v_lshrrev_b32_e32 v5, 16, v12
	s_mov_b32 s4, 0x8000
	v_and_or_b32 v4, v5, s4, v4
	global_store_short v[2:3], v4, off
.LBB11_845:
	s_mov_b64 s[4:5], 0
.LBB11_846:
	s_andn2_b64 vcc, exec, s[4:5]
	s_cbranch_vccnz .LBB11_862
; %bb.847:
	s_cmp_lt_i32 s8, 2
	s_mov_b64 s[4:5], -1
	s_cbranch_scc1 .LBB11_857
; %bb.848:
	s_cmp_lt_i32 s8, 3
	s_cbranch_scc1 .LBB11_854
; %bb.849:
	s_cmp_gt_i32 s8, 3
	s_cbranch_scc0 .LBB11_851
; %bb.850:
	buffer_load_dword v4, off, s[0:3], 0 offset:48 ; 4-byte Folded Reload
	buffer_load_dword v5, off, s[0:3], 0 offset:52 ; 4-byte Folded Reload
	;; [unrolled: 1-line block ×4, first 2 shown]
	s_movk_i32 s4, 0xffe0
	s_waitcnt vmcnt(2)
	v_trunc_f64_e32 v[4:5], v[4:5]
	s_waitcnt vmcnt(0)
	v_ldexp_f64 v[6:7], v[4:5], s4
	s_mov_b32 s4, 0
	s_mov_b32 s5, 0xc1f00000
	v_floor_f64_e32 v[6:7], v[6:7]
	v_fma_f64 v[4:5], v[6:7], s[4:5], v[4:5]
	v_cvt_i32_f64_e32 v6, v[6:7]
	s_mov_b64 s[4:5], 0
	v_cvt_u32_f64_e32 v5, v[4:5]
	global_store_dwordx2 v[2:3], v[5:6], off
.LBB11_851:
	s_andn2_b64 vcc, exec, s[4:5]
	s_cbranch_vccnz .LBB11_853
; %bb.852:
	buffer_load_dword v4, off, s[0:3], 0 offset:48 ; 4-byte Folded Reload
	buffer_load_dword v5, off, s[0:3], 0 offset:52 ; 4-byte Folded Reload
	;; [unrolled: 1-line block ×4, first 2 shown]
	s_waitcnt vmcnt(2)
	v_cvt_i32_f64_e32 v4, v[4:5]
	global_store_dword v[2:3], v4, off
.LBB11_853:
	s_mov_b64 s[4:5], 0
.LBB11_854:
	s_andn2_b64 vcc, exec, s[4:5]
	s_cbranch_vccnz .LBB11_856
; %bb.855:
	buffer_load_dword v4, off, s[0:3], 0 offset:48 ; 4-byte Folded Reload
	buffer_load_dword v5, off, s[0:3], 0 offset:52 ; 4-byte Folded Reload
	;; [unrolled: 1-line block ×4, first 2 shown]
	s_waitcnt vmcnt(2)
	v_cvt_i32_f64_e32 v4, v[4:5]
	global_store_short v[2:3], v4, off
.LBB11_856:
	s_mov_b64 s[4:5], 0
.LBB11_857:
	s_andn2_b64 vcc, exec, s[4:5]
	s_cbranch_vccnz .LBB11_862
; %bb.858:
	s_cmp_gt_i32 s8, 0
	s_mov_b64 s[4:5], -1
	s_cbranch_scc0 .LBB11_860
; %bb.859:
	buffer_load_dword v4, off, s[0:3], 0 offset:48 ; 4-byte Folded Reload
	buffer_load_dword v5, off, s[0:3], 0 offset:52 ; 4-byte Folded Reload
	;; [unrolled: 1-line block ×4, first 2 shown]
	s_mov_b64 s[4:5], 0
	s_waitcnt vmcnt(2)
	v_cvt_i32_f64_e32 v4, v[4:5]
	global_store_byte v[2:3], v4, off
.LBB11_860:
	s_andn2_b64 vcc, exec, s[4:5]
	s_cbranch_vccnz .LBB11_862
; %bb.861:
	buffer_load_dword v4, off, s[0:3], 0 offset:48 ; 4-byte Folded Reload
	buffer_load_dword v5, off, s[0:3], 0 offset:52 ; 4-byte Folded Reload
	;; [unrolled: 1-line block ×4, first 2 shown]
	s_movk_i32 s4, 0xffe0
	s_waitcnt vmcnt(2)
	v_trunc_f64_e32 v[4:5], v[4:5]
	s_waitcnt vmcnt(0)
	v_ldexp_f64 v[6:7], v[4:5], s4
	s_mov_b32 s4, 0
	s_mov_b32 s5, 0xc1f00000
	v_floor_f64_e32 v[6:7], v[6:7]
	v_fma_f64 v[4:5], v[6:7], s[4:5], v[4:5]
	v_cvt_u32_f64_e32 v4, v[4:5]
	global_store_byte v[2:3], v4, off
.LBB11_862:
.LBB11_863:
	v_mov_b32_e32 v3, s37
	s_waitcnt vmcnt(5)
	v_add_co_u32_e32 v2, vcc, s36, v10
	s_cmp_lt_i32 s16, 11
	v_addc_co_u32_e32 v3, vcc, 0, v3, vcc
	s_cbranch_scc1 .LBB11_1018
; %bb.864:
	s_and_b32 s17, 0xffff, s16
	s_mov_b64 s[12:13], -1
	s_mov_b64 s[8:9], 0
	s_cmp_gt_i32 s17, 25
	s_mov_b64 s[10:11], 0
	s_mov_b64 s[4:5], 0
	s_cbranch_scc0 .LBB11_897
; %bb.865:
	s_cmp_gt_i32 s17, 28
	s_cbranch_scc0 .LBB11_880
; %bb.866:
	s_cmp_gt_i32 s17, 43
	;; [unrolled: 3-line block ×3, first 2 shown]
	s_cbranch_scc0 .LBB11_870
; %bb.868:
	s_mov_b64 s[4:5], -1
	s_mov_b64 s[12:13], 0
	s_cmp_eq_u32 s17, 46
	s_cbranch_scc0 .LBB11_870
; %bb.869:
	buffer_load_dword v4, off, s[0:3], 0 offset:64 ; 4-byte Folded Reload
	buffer_load_dword v5, off, s[0:3], 0 offset:68 ; 4-byte Folded Reload
	;; [unrolled: 1-line block ×4, first 2 shown]
	s_movk_i32 s4, 0x7fff
	s_mov_b64 s[10:11], -1
	s_waitcnt vmcnt(2)
	v_cvt_f32_f64_e32 v4, v[4:5]
	v_mov_b32_e32 v5, 0x7fc0
	s_waitcnt vmcnt(1)
	v_bfe_u32 v6, v4, 16, 1
	v_cmp_o_f32_e32 vcc, v4, v4
	v_add3_u32 v4, v4, v6, s4
	v_cndmask_b32_sdwa v4, v5, v4, vcc dst_sel:DWORD dst_unused:UNUSED_PAD src0_sel:DWORD src1_sel:WORD_1
	global_store_dword v[2:3], v4, off
	s_mov_b64 s[4:5], 0
.LBB11_870:
	s_and_b64 vcc, exec, s[12:13]
	s_cbranch_vccz .LBB11_875
; %bb.871:
	s_cmp_eq_u32 s17, 44
	s_mov_b64 s[4:5], -1
	s_cbranch_scc0 .LBB11_875
; %bb.872:
	buffer_load_dword v4, off, s[0:3], 0 offset:64 ; 4-byte Folded Reload
	buffer_load_dword v5, off, s[0:3], 0 offset:68 ; 4-byte Folded Reload
	;; [unrolled: 1-line block ×4, first 2 shown]
	s_movk_i32 s4, 0xff
	s_waitcnt vmcnt(1)
	v_mov_b32_e32 v6, 0xff
	v_cvt_f32_f64_e32 v4, v[4:5]
	v_bfe_u32 v5, v4, 23, 8
	v_cmp_ne_u32_e32 vcc, s4, v5
	s_and_saveexec_b64 s[10:11], vcc
	s_cbranch_execz .LBB11_874
; %bb.873:
	s_mov_b32 s4, 0x3fffff
	v_lshrrev_b32_e32 v6, 23, v4
	s_waitcnt vmcnt(0)
	v_and_b32_e32 v7, 0x400000, v4
	v_and_or_b32 v4, v4, s4, v5
	v_cmp_ne_u32_e32 vcc, 0, v7
	v_cmp_ne_u32_e64 s[4:5], 0, v4
	s_and_b64 s[4:5], vcc, s[4:5]
	v_cndmask_b32_e64 v4, 0, 1, s[4:5]
	v_add_u32_e32 v6, v6, v4
.LBB11_874:
	s_or_b64 exec, exec, s[10:11]
	s_mov_b64 s[4:5], 0
	s_mov_b64 s[10:11], -1
	global_store_byte v[2:3], v6, off
.LBB11_875:
	s_mov_b64 s[12:13], 0
.LBB11_876:
	s_and_b64 vcc, exec, s[12:13]
	s_cbranch_vccz .LBB11_879
; %bb.877:
	s_cmp_eq_u32 s17, 29
	s_mov_b64 s[4:5], -1
	s_cbranch_scc0 .LBB11_879
; %bb.878:
	buffer_load_dword v4, off, s[0:3], 0 offset:64 ; 4-byte Folded Reload
	buffer_load_dword v5, off, s[0:3], 0 offset:68 ; 4-byte Folded Reload
	buffer_load_dword v6, off, s[0:3], 0 offset:72 ; 4-byte Folded Reload
	buffer_load_dword v7, off, s[0:3], 0 offset:76 ; 4-byte Folded Reload
	s_movk_i32 s4, 0xffe0
	s_mov_b64 s[10:11], -1
	s_waitcnt vmcnt(2)
	v_trunc_f64_e32 v[4:5], v[4:5]
	s_waitcnt vmcnt(0)
	v_ldexp_f64 v[6:7], v[4:5], s4
	s_mov_b32 s4, 0
	s_mov_b32 s5, 0xc1f00000
	v_floor_f64_e32 v[6:7], v[6:7]
	v_fma_f64 v[4:5], v[6:7], s[4:5], v[4:5]
	v_cvt_u32_f64_e32 v6, v[6:7]
	s_mov_b64 s[4:5], 0
	v_cvt_u32_f64_e32 v5, v[4:5]
	global_store_dwordx2 v[2:3], v[5:6], off
.LBB11_879:
	s_mov_b64 s[12:13], 0
.LBB11_880:
	s_and_b64 vcc, exec, s[12:13]
	s_cbranch_vccz .LBB11_896
; %bb.881:
	s_cmp_lt_i32 s17, 27
	s_mov_b64 s[10:11], -1
	s_cbranch_scc1 .LBB11_887
; %bb.882:
	buffer_load_dword v4, off, s[0:3], 0 offset:64 ; 4-byte Folded Reload
	buffer_load_dword v5, off, s[0:3], 0 offset:68 ; 4-byte Folded Reload
	;; [unrolled: 1-line block ×4, first 2 shown]
	s_cmp_gt_i32 s17, 27
	s_waitcnt vmcnt(2)
	v_cvt_u32_f64_e32 v4, v[4:5]
	s_cbranch_scc0 .LBB11_884
; %bb.883:
	s_mov_b64 s[10:11], 0
	global_store_dword v[2:3], v4, off
.LBB11_884:
	s_andn2_b64 vcc, exec, s[10:11]
	s_cbranch_vccnz .LBB11_886
; %bb.885:
	global_store_short v[2:3], v4, off
.LBB11_886:
	s_mov_b64 s[10:11], 0
.LBB11_887:
	s_andn2_b64 vcc, exec, s[10:11]
	s_cbranch_vccnz .LBB11_895
; %bb.888:
	buffer_load_dword v4, off, s[0:3], 0 offset:64 ; 4-byte Folded Reload
	buffer_load_dword v5, off, s[0:3], 0 offset:68 ; 4-byte Folded Reload
	;; [unrolled: 1-line block ×4, first 2 shown]
	s_mov_b32 s10, 0x43800000
	s_waitcnt vmcnt(1)
	v_mov_b32_e32 v6, 0x80
	v_cvt_f32_f64_e32 v4, v[4:5]
	v_and_b32_e32 v5, 0x7fffffff, v4
	v_cmp_gt_u32_e32 vcc, s10, v5
	s_and_saveexec_b64 s[10:11], vcc
	s_cbranch_execz .LBB11_894
; %bb.889:
	s_mov_b32 s12, 0x3bffffff
	v_cmp_lt_u32_e32 vcc, s12, v5
	s_mov_b64 s[12:13], 0
                                        ; implicit-def: $vgpr5
	s_and_saveexec_b64 s[14:15], vcc
	s_xor_b64 s[14:15], exec, s[14:15]
	s_cbranch_execz .LBB11_1113
; %bb.890:
	v_bfe_u32 v5, v4, 20, 1
	s_mov_b32 s18, 0x487ffff
	v_add3_u32 v5, v4, v5, s18
	s_mov_b64 s[12:13], exec
	v_lshrrev_b32_e32 v5, 20, v5
	s_andn2_saveexec_b64 s[14:15], s[14:15]
	s_cbranch_execnz .LBB11_1114
.LBB11_891:
	s_or_b64 exec, exec, s[14:15]
	v_mov_b32_e32 v6, 0
	s_and_saveexec_b64 s[14:15], s[12:13]
.LBB11_892:
	v_lshrrev_b32_e32 v4, 24, v4
	s_movk_i32 s12, 0x80
	v_and_or_b32 v6, v4, s12, v5
.LBB11_893:
	s_or_b64 exec, exec, s[14:15]
.LBB11_894:
	s_or_b64 exec, exec, s[10:11]
	global_store_byte v[2:3], v6, off
.LBB11_895:
	s_mov_b64 s[10:11], -1
.LBB11_896:
	s_mov_b64 s[12:13], 0
.LBB11_897:
	s_and_b64 vcc, exec, s[12:13]
	s_cbranch_vccz .LBB11_937
; %bb.898:
	s_cmp_gt_i32 s17, 22
	s_mov_b64 s[8:9], -1
	s_cbranch_scc0 .LBB11_930
; %bb.899:
	s_cmp_lt_i32 s17, 24
	s_cbranch_scc1 .LBB11_919
; %bb.900:
	s_cmp_gt_i32 s17, 24
	s_cbranch_scc0 .LBB11_908
; %bb.901:
	buffer_load_dword v4, off, s[0:3], 0 offset:64 ; 4-byte Folded Reload
	buffer_load_dword v5, off, s[0:3], 0 offset:68 ; 4-byte Folded Reload
	;; [unrolled: 1-line block ×4, first 2 shown]
	s_mov_b32 s8, 0x47800000
	s_waitcnt vmcnt(1)
	v_mov_b32_e32 v6, 0x80
	v_cvt_f32_f64_e32 v4, v[4:5]
	v_and_b32_e32 v5, 0x7fffffff, v4
	v_cmp_gt_u32_e32 vcc, s8, v5
	s_and_saveexec_b64 s[8:9], vcc
	s_cbranch_execz .LBB11_907
; %bb.902:
	s_mov_b32 s10, 0x37ffffff
	v_cmp_lt_u32_e32 vcc, s10, v5
	s_mov_b64 s[10:11], 0
                                        ; implicit-def: $vgpr5
	s_and_saveexec_b64 s[12:13], vcc
	s_xor_b64 s[12:13], exec, s[12:13]
	s_cbranch_execz .LBB11_1116
; %bb.903:
	v_bfe_u32 v5, v4, 21, 1
	s_mov_b32 s14, 0x88fffff
	v_add3_u32 v5, v4, v5, s14
	s_mov_b64 s[10:11], exec
	v_lshrrev_b32_e32 v5, 21, v5
	s_andn2_saveexec_b64 s[12:13], s[12:13]
	s_cbranch_execnz .LBB11_1117
.LBB11_904:
	s_or_b64 exec, exec, s[12:13]
	v_mov_b32_e32 v6, 0
	s_and_saveexec_b64 s[12:13], s[10:11]
.LBB11_905:
	v_lshrrev_b32_e32 v4, 24, v4
	s_movk_i32 s10, 0x80
	v_and_or_b32 v6, v4, s10, v5
.LBB11_906:
	s_or_b64 exec, exec, s[12:13]
.LBB11_907:
	s_or_b64 exec, exec, s[8:9]
	s_mov_b64 s[8:9], 0
	global_store_byte v[2:3], v6, off
.LBB11_908:
	s_and_b64 vcc, exec, s[8:9]
	s_cbranch_vccz .LBB11_918
; %bb.909:
	buffer_load_dword v4, off, s[0:3], 0 offset:64 ; 4-byte Folded Reload
	buffer_load_dword v5, off, s[0:3], 0 offset:68 ; 4-byte Folded Reload
	;; [unrolled: 1-line block ×4, first 2 shown]
	s_mov_b32 s8, 0x43f00000
	s_waitcnt vmcnt(2)
	v_cvt_f32_f64_e32 v4, v[4:5]
                                        ; implicit-def: $vgpr5
	s_waitcnt vmcnt(1)
	v_and_b32_e32 v6, 0x7fffffff, v4
	v_cmp_gt_u32_e32 vcc, s8, v6
	s_and_saveexec_b64 s[8:9], vcc
	s_xor_b64 s[8:9], exec, s[8:9]
	s_cbranch_execz .LBB11_915
; %bb.910:
	s_mov_b32 s10, 0x3c7fffff
	v_cmp_lt_u32_e32 vcc, s10, v6
                                        ; implicit-def: $vgpr5
	s_and_saveexec_b64 s[10:11], vcc
	s_xor_b64 s[10:11], exec, s[10:11]
	s_cbranch_execz .LBB11_912
; %bb.911:
	v_bfe_u32 v5, v4, 20, 1
	s_mov_b32 s12, 0x407ffff
	v_add3_u32 v5, v4, v5, s12
	v_lshrrev_b32_e32 v6, 20, v5
	v_and_b32_e32 v5, 0xff00000, v5
	s_mov_b32 s12, 0x7f00000
	s_waitcnt vmcnt(0)
	v_mov_b32_e32 v7, 0x7e
	v_cmp_ne_u32_e32 vcc, s12, v5
	v_cndmask_b32_e32 v5, v7, v6, vcc
.LBB11_912:
	s_andn2_saveexec_b64 s[10:11], s[10:11]
; %bb.913:
	s_mov_b32 s12, 0x46800000
	v_add_f32_e64 v5, |v4|, s12
; %bb.914:
	s_or_b64 exec, exec, s[10:11]
                                        ; implicit-def: $vgpr6
.LBB11_915:
	s_andn2_saveexec_b64 s[8:9], s[8:9]
	s_cbranch_execz .LBB11_917
; %bb.916:
	s_mov_b32 s10, 0x7f800000
	v_mov_b32_e32 v5, 0x7e
	s_waitcnt vmcnt(0)
	v_mov_b32_e32 v7, 0x7f
	v_cmp_lt_u32_e32 vcc, s10, v6
	v_cndmask_b32_e32 v5, v5, v7, vcc
.LBB11_917:
	s_or_b64 exec, exec, s[8:9]
	v_lshrrev_b32_e32 v4, 24, v4
	s_movk_i32 s8, 0x80
	v_and_or_b32 v4, v4, s8, v5
	global_store_byte v[2:3], v4, off
.LBB11_918:
	s_mov_b64 s[8:9], 0
.LBB11_919:
	s_andn2_b64 vcc, exec, s[8:9]
	s_cbranch_vccnz .LBB11_929
; %bb.920:
	buffer_load_dword v4, off, s[0:3], 0 offset:64 ; 4-byte Folded Reload
	buffer_load_dword v5, off, s[0:3], 0 offset:68 ; 4-byte Folded Reload
	;; [unrolled: 1-line block ×4, first 2 shown]
	s_mov_b32 s8, 0x47800000
	s_waitcnt vmcnt(2)
	v_cvt_f32_f64_e32 v4, v[4:5]
                                        ; implicit-def: $vgpr5
	s_waitcnt vmcnt(1)
	v_and_b32_e32 v6, 0x7fffffff, v4
	v_cmp_gt_u32_e32 vcc, s8, v6
	s_and_saveexec_b64 s[8:9], vcc
	s_xor_b64 s[8:9], exec, s[8:9]
	s_cbranch_execz .LBB11_926
; %bb.921:
	s_mov_b32 s10, 0x387fffff
	v_cmp_lt_u32_e32 vcc, s10, v6
                                        ; implicit-def: $vgpr5
	s_and_saveexec_b64 s[10:11], vcc
	s_xor_b64 s[10:11], exec, s[10:11]
; %bb.922:
	v_bfe_u32 v5, v4, 21, 1
	s_mov_b32 s12, 0x80fffff
	v_add3_u32 v5, v4, v5, s12
	v_lshrrev_b32_e32 v5, 21, v5
; %bb.923:
	s_andn2_saveexec_b64 s[10:11], s[10:11]
; %bb.924:
	s_mov_b32 s12, 0x43000000
	v_add_f32_e64 v5, |v4|, s12
; %bb.925:
	s_or_b64 exec, exec, s[10:11]
                                        ; implicit-def: $vgpr6
.LBB11_926:
	s_andn2_saveexec_b64 s[8:9], s[8:9]
	s_cbranch_execz .LBB11_928
; %bb.927:
	s_mov_b32 s10, 0x7f800000
	v_mov_b32_e32 v5, 0x7c
	s_waitcnt vmcnt(0)
	v_mov_b32_e32 v7, 0x7f
	v_cmp_lt_u32_e32 vcc, s10, v6
	v_cndmask_b32_e32 v5, v5, v7, vcc
.LBB11_928:
	s_or_b64 exec, exec, s[8:9]
	v_lshrrev_b32_e32 v4, 24, v4
	s_movk_i32 s8, 0x80
	v_and_or_b32 v4, v4, s8, v5
	global_store_byte v[2:3], v4, off
.LBB11_929:
	s_mov_b64 s[8:9], 0
	s_mov_b64 s[10:11], -1
.LBB11_930:
	s_andn2_b64 vcc, exec, s[8:9]
	s_mov_b64 s[8:9], 0
	s_cbranch_vccnz .LBB11_937
; %bb.931:
	s_cmp_gt_i32 s17, 14
	s_mov_b64 s[12:13], -1
	s_cbranch_scc0 .LBB11_935
; %bb.932:
	s_cmp_eq_u32 s17, 15
	s_mov_b64 s[4:5], -1
	s_cbranch_scc0 .LBB11_934
; %bb.933:
	buffer_load_dword v4, off, s[0:3], 0 offset:64 ; 4-byte Folded Reload
	buffer_load_dword v5, off, s[0:3], 0 offset:68 ; 4-byte Folded Reload
	;; [unrolled: 1-line block ×4, first 2 shown]
	s_movk_i32 s4, 0x7fff
	s_mov_b64 s[10:11], -1
	s_waitcnt vmcnt(2)
	v_cvt_f32_f64_e32 v4, v[4:5]
	v_mov_b32_e32 v5, 0x7fc0
	s_waitcnt vmcnt(1)
	v_bfe_u32 v6, v4, 16, 1
	v_cmp_o_f32_e32 vcc, v4, v4
	v_add3_u32 v4, v4, v6, s4
	v_cndmask_b32_sdwa v4, v5, v4, vcc dst_sel:DWORD dst_unused:UNUSED_PAD src0_sel:DWORD src1_sel:WORD_1
	global_store_short v[2:3], v4, off
	s_mov_b64 s[4:5], 0
.LBB11_934:
	s_mov_b64 s[12:13], 0
.LBB11_935:
	s_and_b64 vcc, exec, s[12:13]
	s_cbranch_vccz .LBB11_937
; %bb.936:
	s_cmp_lg_u32 s17, 11
	s_mov_b64 s[8:9], -1
	s_cselect_b64 s[4:5], -1, 0
.LBB11_937:
	s_and_b64 vcc, exec, s[4:5]
	s_cbranch_vccnz .LBB11_1115
; %bb.938:
	s_andn2_b64 vcc, exec, s[8:9]
	s_cbranch_vccnz .LBB11_940
.LBB11_939:
	buffer_load_dword v4, off, s[0:3], 0 offset:64 ; 4-byte Folded Reload
	buffer_load_dword v5, off, s[0:3], 0 offset:68 ; 4-byte Folded Reload
	;; [unrolled: 1-line block ×4, first 2 shown]
	s_mov_b64 s[10:11], -1
	s_waitcnt vmcnt(2)
	v_cmp_neq_f64_e32 vcc, 0, v[4:5]
	v_cndmask_b32_e64 v4, 0, 1, vcc
	global_store_byte v[2:3], v4, off
.LBB11_940:
.LBB11_941:
	s_andn2_b64 vcc, exec, s[10:11]
	s_cbranch_vccnz .LBB11_1057
.LBB11_942:
	v_mov_b32_e32 v2, s37
	v_add_co_u32_e32 v4, vcc, s36, v9
	s_cmp_lt_i32 s16, 11
	v_addc_co_u32_e32 v5, vcc, 0, v2, vcc
	s_cbranch_scc1 .LBB11_1102
; %bb.943:
	s_and_b32 s17, 0xffff, s16
	s_mov_b64 s[10:11], -1
	s_mov_b64 s[8:9], 0
	s_cmp_gt_i32 s17, 25
	s_mov_b64 s[4:5], 0
	s_cbranch_scc0 .LBB11_976
; %bb.944:
	s_cmp_gt_i32 s17, 28
	s_cbranch_scc0 .LBB11_960
; %bb.945:
	s_cmp_gt_i32 s17, 43
	;; [unrolled: 3-line block ×3, first 2 shown]
	s_cbranch_scc0 .LBB11_950
; %bb.947:
	s_cmp_eq_u32 s17, 46
	s_mov_b64 s[4:5], -1
	s_cbranch_scc0 .LBB11_949
; %bb.948:
	v_cvt_f32_f64_e32 v2, v[0:1]
	s_movk_i32 s4, 0x7fff
	v_mov_b32_e32 v3, 0x7fc0
	s_waitcnt vmcnt(1)
	v_bfe_u32 v6, v2, 16, 1
	v_cmp_o_f32_e32 vcc, v2, v2
	v_add3_u32 v2, v2, v6, s4
	v_cndmask_b32_sdwa v2, v3, v2, vcc dst_sel:DWORD dst_unused:UNUSED_PAD src0_sel:DWORD src1_sel:WORD_1
	global_store_dword v[4:5], v2, off
	s_mov_b64 s[4:5], 0
.LBB11_949:
	s_mov_b64 s[10:11], 0
.LBB11_950:
	s_and_b64 vcc, exec, s[10:11]
	s_cbranch_vccz .LBB11_955
; %bb.951:
	s_cmp_eq_u32 s17, 44
	s_mov_b64 s[4:5], -1
	s_cbranch_scc0 .LBB11_955
; %bb.952:
	v_cvt_f32_f64_e32 v2, v[0:1]
	s_movk_i32 s4, 0xff
	s_waitcnt vmcnt(1)
	v_mov_b32_e32 v6, 0xff
	v_bfe_u32 v3, v2, 23, 8
	v_cmp_ne_u32_e32 vcc, s4, v3
	s_and_saveexec_b64 s[10:11], vcc
	s_cbranch_execz .LBB11_954
; %bb.953:
	s_mov_b32 s4, 0x3fffff
	v_lshrrev_b32_e32 v6, 23, v2
	s_waitcnt vmcnt(0)
	v_and_b32_e32 v7, 0x400000, v2
	v_and_or_b32 v2, v2, s4, v3
	v_cmp_ne_u32_e32 vcc, 0, v7
	v_cmp_ne_u32_e64 s[4:5], 0, v2
	s_and_b64 s[4:5], vcc, s[4:5]
	v_cndmask_b32_e64 v2, 0, 1, s[4:5]
	v_add_u32_e32 v6, v6, v2
.LBB11_954:
	s_or_b64 exec, exec, s[10:11]
	s_mov_b64 s[4:5], 0
	global_store_byte v[4:5], v6, off
.LBB11_955:
	s_mov_b64 s[10:11], 0
.LBB11_956:
	s_and_b64 vcc, exec, s[10:11]
	s_cbranch_vccz .LBB11_959
; %bb.957:
	s_cmp_eq_u32 s17, 29
	s_mov_b64 s[4:5], -1
	s_cbranch_scc0 .LBB11_959
; %bb.958:
	v_trunc_f64_e32 v[2:3], v[0:1]
	s_movk_i32 s4, 0xffe0
	s_waitcnt vmcnt(0)
	v_ldexp_f64 v[6:7], v[2:3], s4
	s_mov_b32 s4, 0
	s_mov_b32 s5, 0xc1f00000
	v_floor_f64_e32 v[6:7], v[6:7]
	v_fma_f64 v[2:3], v[6:7], s[4:5], v[2:3]
	v_cvt_u32_f64_e32 v7, v[6:7]
	s_mov_b64 s[4:5], 0
	v_cvt_u32_f64_e32 v6, v[2:3]
	global_store_dwordx2 v[4:5], v[6:7], off
.LBB11_959:
	s_mov_b64 s[10:11], 0
.LBB11_960:
	s_and_b64 vcc, exec, s[10:11]
	s_cbranch_vccz .LBB11_975
; %bb.961:
	s_cmp_lt_i32 s17, 27
	s_mov_b64 s[10:11], -1
	s_cbranch_scc1 .LBB11_967
; %bb.962:
	v_cvt_u32_f64_e32 v2, v[0:1]
	s_cmp_gt_i32 s17, 27
	s_cbranch_scc0 .LBB11_964
; %bb.963:
	global_store_dword v[4:5], v2, off
	s_mov_b64 s[10:11], 0
.LBB11_964:
	s_andn2_b64 vcc, exec, s[10:11]
	s_cbranch_vccnz .LBB11_966
; %bb.965:
	global_store_short v[4:5], v2, off
.LBB11_966:
	s_mov_b64 s[10:11], 0
.LBB11_967:
	s_andn2_b64 vcc, exec, s[10:11]
	s_cbranch_vccnz .LBB11_975
; %bb.968:
	v_cvt_f32_f64_e32 v2, v[0:1]
	s_mov_b32 s10, 0x43800000
	s_waitcnt vmcnt(1)
	v_mov_b32_e32 v6, 0x80
	v_and_b32_e32 v3, 0x7fffffff, v2
	v_cmp_gt_u32_e32 vcc, s10, v3
	s_and_saveexec_b64 s[10:11], vcc
	s_cbranch_execz .LBB11_974
; %bb.969:
	s_mov_b32 s12, 0x3bffffff
	v_cmp_lt_u32_e32 vcc, s12, v3
	s_mov_b64 s[12:13], 0
                                        ; implicit-def: $vgpr3
	s_and_saveexec_b64 s[14:15], vcc
	s_xor_b64 s[14:15], exec, s[14:15]
	s_cbranch_execz .LBB11_1118
; %bb.970:
	v_bfe_u32 v3, v2, 20, 1
	s_mov_b32 s18, 0x487ffff
	v_add3_u32 v3, v2, v3, s18
	s_mov_b64 s[12:13], exec
	v_lshrrev_b32_e32 v3, 20, v3
	s_andn2_saveexec_b64 s[14:15], s[14:15]
	s_cbranch_execnz .LBB11_1119
.LBB11_971:
	s_or_b64 exec, exec, s[14:15]
	v_mov_b32_e32 v6, 0
	s_and_saveexec_b64 s[14:15], s[12:13]
.LBB11_972:
	v_lshrrev_b32_e32 v2, 24, v2
	s_movk_i32 s12, 0x80
	v_and_or_b32 v6, v2, s12, v3
.LBB11_973:
	s_or_b64 exec, exec, s[14:15]
.LBB11_974:
	s_or_b64 exec, exec, s[10:11]
	global_store_byte v[4:5], v6, off
.LBB11_975:
	s_mov_b64 s[10:11], 0
.LBB11_976:
	s_and_b64 vcc, exec, s[10:11]
	s_cbranch_vccz .LBB11_1016
; %bb.977:
	s_cmp_gt_i32 s17, 22
	s_mov_b64 s[8:9], -1
	s_cbranch_scc0 .LBB11_1009
; %bb.978:
	s_cmp_lt_i32 s17, 24
	s_cbranch_scc1 .LBB11_998
; %bb.979:
	s_cmp_gt_i32 s17, 24
	s_cbranch_scc0 .LBB11_987
; %bb.980:
	v_cvt_f32_f64_e32 v2, v[0:1]
	s_mov_b32 s8, 0x47800000
	s_waitcnt vmcnt(1)
	v_mov_b32_e32 v6, 0x80
	v_and_b32_e32 v3, 0x7fffffff, v2
	v_cmp_gt_u32_e32 vcc, s8, v3
	s_and_saveexec_b64 s[8:9], vcc
	s_cbranch_execz .LBB11_986
; %bb.981:
	s_mov_b32 s10, 0x37ffffff
	v_cmp_lt_u32_e32 vcc, s10, v3
	s_mov_b64 s[10:11], 0
                                        ; implicit-def: $vgpr3
	s_and_saveexec_b64 s[12:13], vcc
	s_xor_b64 s[12:13], exec, s[12:13]
	s_cbranch_execz .LBB11_1123
; %bb.982:
	v_bfe_u32 v3, v2, 21, 1
	s_mov_b32 s14, 0x88fffff
	v_add3_u32 v3, v2, v3, s14
	s_mov_b64 s[10:11], exec
	v_lshrrev_b32_e32 v3, 21, v3
	s_andn2_saveexec_b64 s[12:13], s[12:13]
	s_cbranch_execnz .LBB11_1124
.LBB11_983:
	s_or_b64 exec, exec, s[12:13]
	v_mov_b32_e32 v6, 0
	s_and_saveexec_b64 s[12:13], s[10:11]
.LBB11_984:
	v_lshrrev_b32_e32 v2, 24, v2
	s_movk_i32 s10, 0x80
	v_and_or_b32 v6, v2, s10, v3
.LBB11_985:
	s_or_b64 exec, exec, s[12:13]
.LBB11_986:
	s_or_b64 exec, exec, s[8:9]
	s_mov_b64 s[8:9], 0
	global_store_byte v[4:5], v6, off
.LBB11_987:
	s_and_b64 vcc, exec, s[8:9]
	s_cbranch_vccz .LBB11_997
; %bb.988:
	v_cvt_f32_f64_e32 v2, v[0:1]
	s_mov_b32 s8, 0x43f00000
                                        ; implicit-def: $vgpr3
	s_waitcnt vmcnt(1)
	v_and_b32_e32 v6, 0x7fffffff, v2
	v_cmp_gt_u32_e32 vcc, s8, v6
	s_and_saveexec_b64 s[8:9], vcc
	s_xor_b64 s[8:9], exec, s[8:9]
	s_cbranch_execz .LBB11_994
; %bb.989:
	s_mov_b32 s10, 0x3c7fffff
	v_cmp_lt_u32_e32 vcc, s10, v6
                                        ; implicit-def: $vgpr3
	s_and_saveexec_b64 s[10:11], vcc
	s_xor_b64 s[10:11], exec, s[10:11]
	s_cbranch_execz .LBB11_991
; %bb.990:
	v_bfe_u32 v3, v2, 20, 1
	s_mov_b32 s12, 0x407ffff
	v_add3_u32 v3, v2, v3, s12
	v_lshrrev_b32_e32 v6, 20, v3
	v_and_b32_e32 v3, 0xff00000, v3
	s_mov_b32 s12, 0x7f00000
	s_waitcnt vmcnt(0)
	v_mov_b32_e32 v7, 0x7e
	v_cmp_ne_u32_e32 vcc, s12, v3
	v_cndmask_b32_e32 v3, v7, v6, vcc
.LBB11_991:
	s_andn2_saveexec_b64 s[10:11], s[10:11]
; %bb.992:
	s_mov_b32 s12, 0x46800000
	v_add_f32_e64 v3, |v2|, s12
; %bb.993:
	s_or_b64 exec, exec, s[10:11]
                                        ; implicit-def: $vgpr6
.LBB11_994:
	s_andn2_saveexec_b64 s[8:9], s[8:9]
	s_cbranch_execz .LBB11_996
; %bb.995:
	s_mov_b32 s10, 0x7f800000
	v_mov_b32_e32 v3, 0x7e
	s_waitcnt vmcnt(0)
	v_mov_b32_e32 v7, 0x7f
	v_cmp_lt_u32_e32 vcc, s10, v6
	v_cndmask_b32_e32 v3, v3, v7, vcc
.LBB11_996:
	s_or_b64 exec, exec, s[8:9]
	v_lshrrev_b32_e32 v2, 24, v2
	s_movk_i32 s8, 0x80
	v_and_or_b32 v2, v2, s8, v3
	global_store_byte v[4:5], v2, off
.LBB11_997:
	s_mov_b64 s[8:9], 0
.LBB11_998:
	s_andn2_b64 vcc, exec, s[8:9]
	s_cbranch_vccnz .LBB11_1008
; %bb.999:
	v_cvt_f32_f64_e32 v2, v[0:1]
	s_mov_b32 s8, 0x47800000
                                        ; implicit-def: $vgpr3
	s_waitcnt vmcnt(1)
	v_and_b32_e32 v6, 0x7fffffff, v2
	v_cmp_gt_u32_e32 vcc, s8, v6
	s_and_saveexec_b64 s[8:9], vcc
	s_xor_b64 s[8:9], exec, s[8:9]
	s_cbranch_execz .LBB11_1005
; %bb.1000:
	s_mov_b32 s10, 0x387fffff
	v_cmp_lt_u32_e32 vcc, s10, v6
                                        ; implicit-def: $vgpr3
	s_and_saveexec_b64 s[10:11], vcc
	s_xor_b64 s[10:11], exec, s[10:11]
; %bb.1001:
	v_bfe_u32 v3, v2, 21, 1
	s_mov_b32 s12, 0x80fffff
	v_add3_u32 v3, v2, v3, s12
	v_lshrrev_b32_e32 v3, 21, v3
; %bb.1002:
	s_andn2_saveexec_b64 s[10:11], s[10:11]
; %bb.1003:
	s_mov_b32 s12, 0x43000000
	v_add_f32_e64 v3, |v2|, s12
; %bb.1004:
	s_or_b64 exec, exec, s[10:11]
                                        ; implicit-def: $vgpr6
.LBB11_1005:
	s_andn2_saveexec_b64 s[8:9], s[8:9]
	s_cbranch_execz .LBB11_1007
; %bb.1006:
	s_mov_b32 s10, 0x7f800000
	v_mov_b32_e32 v3, 0x7c
	s_waitcnt vmcnt(0)
	v_mov_b32_e32 v7, 0x7f
	v_cmp_lt_u32_e32 vcc, s10, v6
	v_cndmask_b32_e32 v3, v3, v7, vcc
.LBB11_1007:
	s_or_b64 exec, exec, s[8:9]
	v_lshrrev_b32_e32 v2, 24, v2
	s_movk_i32 s8, 0x80
	v_and_or_b32 v2, v2, s8, v3
	global_store_byte v[4:5], v2, off
.LBB11_1008:
	s_mov_b64 s[8:9], 0
.LBB11_1009:
	s_andn2_b64 vcc, exec, s[8:9]
	s_mov_b64 s[8:9], 0
	s_cbranch_vccnz .LBB11_1016
; %bb.1010:
	s_cmp_gt_i32 s17, 14
	s_mov_b64 s[10:11], -1
	s_cbranch_scc0 .LBB11_1014
; %bb.1011:
	s_cmp_eq_u32 s17, 15
	s_mov_b64 s[4:5], -1
	s_cbranch_scc0 .LBB11_1013
; %bb.1012:
	v_cvt_f32_f64_e32 v2, v[0:1]
	s_movk_i32 s4, 0x7fff
	v_mov_b32_e32 v3, 0x7fc0
	s_waitcnt vmcnt(1)
	v_bfe_u32 v6, v2, 16, 1
	v_cmp_o_f32_e32 vcc, v2, v2
	v_add3_u32 v2, v2, v6, s4
	v_cndmask_b32_sdwa v2, v3, v2, vcc dst_sel:DWORD dst_unused:UNUSED_PAD src0_sel:DWORD src1_sel:WORD_1
	global_store_short v[4:5], v2, off
	s_mov_b64 s[4:5], 0
.LBB11_1013:
	s_mov_b64 s[10:11], 0
.LBB11_1014:
	s_and_b64 vcc, exec, s[10:11]
	s_cbranch_vccz .LBB11_1016
; %bb.1015:
	s_cmp_lg_u32 s17, 11
	s_mov_b64 s[8:9], -1
	s_cselect_b64 s[4:5], -1, 0
.LBB11_1016:
	s_and_b64 vcc, exec, s[4:5]
	s_cbranch_vccnz .LBB11_1120
.LBB11_1017:
	s_mov_b64 s[4:5], 0
	s_branch .LBB11_1058
.LBB11_1018:
	s_mov_b64 s[10:11], 0
	s_cbranch_execz .LBB11_941
; %bb.1019:
	s_and_b32 s8, 0xffff, s16
	s_cmp_lt_i32 s8, 5
	s_mov_b64 s[4:5], -1
	s_cbranch_scc1 .LBB11_1040
; %bb.1020:
	s_cmp_lt_i32 s8, 8
	s_cbranch_scc1 .LBB11_1030
; %bb.1021:
	s_cmp_lt_i32 s8, 9
	s_cbranch_scc1 .LBB11_1027
; %bb.1022:
	s_cmp_gt_i32 s8, 9
	s_cbranch_scc0 .LBB11_1024
; %bb.1023:
	buffer_load_dword v4, off, s[0:3], 0 offset:64 ; 4-byte Folded Reload
	buffer_load_dword v5, off, s[0:3], 0 offset:68 ; 4-byte Folded Reload
	;; [unrolled: 1-line block ×4, first 2 shown]
	v_mov_b32_e32 v12, 0
	s_waitcnt vmcnt(7)
	v_mov_b32_e32 v13, v12
	s_mov_b64 s[4:5], 0
	s_waitcnt vmcnt(2)
	v_mov_b32_e32 v11, v5
	v_mov_b32_e32 v10, v4
	buffer_store_dword v4, off, s[0:3], 0 offset:64 ; 4-byte Folded Spill
	s_nop 0
	buffer_store_dword v5, off, s[0:3], 0 offset:68 ; 4-byte Folded Spill
	s_waitcnt vmcnt(3)
	buffer_store_dword v6, off, s[0:3], 0 offset:72 ; 4-byte Folded Spill
	s_waitcnt vmcnt(3)
	buffer_store_dword v7, off, s[0:3], 0 offset:76 ; 4-byte Folded Spill
	global_store_dwordx4 v[2:3], v[10:13], off
.LBB11_1024:
	s_andn2_b64 vcc, exec, s[4:5]
	s_cbranch_vccnz .LBB11_1026
; %bb.1025:
	buffer_load_dword v4, off, s[0:3], 0 offset:64 ; 4-byte Folded Reload
	buffer_load_dword v5, off, s[0:3], 0 offset:68 ; 4-byte Folded Reload
	;; [unrolled: 1-line block ×4, first 2 shown]
	s_waitcnt vmcnt(2)
	v_cvt_f32_f64_e32 v4, v[4:5]
	v_mov_b32_e32 v5, 0
	global_store_dwordx2 v[2:3], v[4:5], off
.LBB11_1026:
	s_mov_b64 s[4:5], 0
.LBB11_1027:
	s_andn2_b64 vcc, exec, s[4:5]
	s_cbranch_vccnz .LBB11_1029
; %bb.1028:
	buffer_load_dword v4, off, s[0:3], 0 offset:64 ; 4-byte Folded Reload
	buffer_load_dword v5, off, s[0:3], 0 offset:68 ; 4-byte Folded Reload
	;; [unrolled: 1-line block ×4, first 2 shown]
	s_movk_i32 s4, 0x1ff
	s_waitcnt vmcnt(2)
	v_mov_b32_e32 v11, v5
	v_mov_b32_e32 v10, v4
	v_and_or_b32 v4, v11, s4, v10
	v_cmp_ne_u32_e32 vcc, 0, v4
	v_cndmask_b32_e64 v4, 0, 1, vcc
	v_lshrrev_b32_e32 v5, 8, v11
	s_movk_i32 s4, 0xffe
	s_waitcnt vmcnt(1)
	v_bfe_u32 v6, v11, 20, 11
	v_and_or_b32 v4, v5, s4, v4
	s_waitcnt vmcnt(0)
	v_sub_u32_e32 v7, 0x3f1, v6
	v_or_b32_e32 v5, 0x1000, v4
	v_med3_i32 v7, v7, 0, 13
	v_lshrrev_b32_e32 v8, v7, v5
	v_lshlrev_b32_e32 v7, v7, v8
	v_cmp_ne_u32_e32 vcc, v7, v5
	v_cndmask_b32_e64 v5, 0, 1, vcc
	v_add_u32_e32 v6, 0xfffffc10, v6
	v_or_b32_e32 v5, v8, v5
	v_lshl_or_b32 v7, v6, 12, v4
	v_cmp_gt_i32_e32 vcc, 1, v6
	v_cndmask_b32_e32 v5, v7, v5, vcc
	v_and_b32_e32 v7, 7, v5
	v_cmp_lt_i32_e32 vcc, 5, v7
	v_cndmask_b32_e64 v8, 0, 1, vcc
	v_cmp_eq_u32_e32 vcc, 3, v7
	v_cndmask_b32_e64 v7, 0, 1, vcc
	v_or_b32_e32 v7, v7, v8
	v_lshrrev_b32_e32 v5, 2, v5
	v_add_u32_e32 v5, v5, v7
	v_mov_b32_e32 v7, 0x7c00
	v_cmp_gt_i32_e32 vcc, 31, v6
	v_cndmask_b32_e32 v5, v7, v5, vcc
	v_mov_b32_e32 v8, 0x7e00
	v_cmp_ne_u32_e32 vcc, 0, v4
	s_movk_i32 s4, 0x40f
	v_cndmask_b32_e32 v4, v7, v8, vcc
	v_cmp_eq_u32_e32 vcc, s4, v6
	v_cndmask_b32_e32 v4, v5, v4, vcc
	v_lshrrev_b32_e32 v5, 16, v11
	s_mov_b32 s4, 0x8000
	v_and_or_b32 v4, v5, s4, v4
	v_and_b32_e32 v4, 0xffff, v4
	global_store_dword v[2:3], v4, off
.LBB11_1029:
	s_mov_b64 s[4:5], 0
.LBB11_1030:
	s_andn2_b64 vcc, exec, s[4:5]
	s_cbranch_vccnz .LBB11_1039
; %bb.1031:
	s_cmp_lt_i32 s8, 6
	s_mov_b64 s[4:5], -1
	s_cbranch_scc1 .LBB11_1037
; %bb.1032:
	s_cmp_gt_i32 s8, 6
	s_cbranch_scc0 .LBB11_1034
; %bb.1033:
	buffer_load_dword v4, off, s[0:3], 0 offset:64 ; 4-byte Folded Reload
	buffer_load_dword v5, off, s[0:3], 0 offset:68 ; 4-byte Folded Reload
	;; [unrolled: 1-line block ×4, first 2 shown]
	s_mov_b64 s[4:5], 0
	s_waitcnt vmcnt(2)
	global_store_dwordx2 v[2:3], v[4:5], off
.LBB11_1034:
	s_andn2_b64 vcc, exec, s[4:5]
	s_cbranch_vccnz .LBB11_1036
; %bb.1035:
	buffer_load_dword v4, off, s[0:3], 0 offset:64 ; 4-byte Folded Reload
	buffer_load_dword v5, off, s[0:3], 0 offset:68 ; 4-byte Folded Reload
	;; [unrolled: 1-line block ×4, first 2 shown]
	s_waitcnt vmcnt(2)
	v_cvt_f32_f64_e32 v4, v[4:5]
	global_store_dword v[2:3], v4, off
.LBB11_1036:
	s_mov_b64 s[4:5], 0
.LBB11_1037:
	s_andn2_b64 vcc, exec, s[4:5]
	s_cbranch_vccnz .LBB11_1039
; %bb.1038:
	buffer_load_dword v4, off, s[0:3], 0 offset:64 ; 4-byte Folded Reload
	buffer_load_dword v5, off, s[0:3], 0 offset:68 ; 4-byte Folded Reload
	;; [unrolled: 1-line block ×4, first 2 shown]
	s_movk_i32 s4, 0x1ff
	s_waitcnt vmcnt(2)
	v_mov_b32_e32 v11, v5
	v_mov_b32_e32 v10, v4
	v_and_or_b32 v4, v11, s4, v10
	v_cmp_ne_u32_e32 vcc, 0, v4
	v_cndmask_b32_e64 v4, 0, 1, vcc
	v_lshrrev_b32_e32 v5, 8, v11
	s_movk_i32 s4, 0xffe
	s_waitcnt vmcnt(1)
	v_bfe_u32 v6, v11, 20, 11
	v_and_or_b32 v4, v5, s4, v4
	s_waitcnt vmcnt(0)
	v_sub_u32_e32 v7, 0x3f1, v6
	v_or_b32_e32 v5, 0x1000, v4
	v_med3_i32 v7, v7, 0, 13
	v_lshrrev_b32_e32 v8, v7, v5
	v_lshlrev_b32_e32 v7, v7, v8
	v_cmp_ne_u32_e32 vcc, v7, v5
	v_cndmask_b32_e64 v5, 0, 1, vcc
	v_add_u32_e32 v6, 0xfffffc10, v6
	v_or_b32_e32 v5, v8, v5
	v_lshl_or_b32 v7, v6, 12, v4
	v_cmp_gt_i32_e32 vcc, 1, v6
	v_cndmask_b32_e32 v5, v7, v5, vcc
	v_and_b32_e32 v7, 7, v5
	v_cmp_lt_i32_e32 vcc, 5, v7
	v_cndmask_b32_e64 v8, 0, 1, vcc
	v_cmp_eq_u32_e32 vcc, 3, v7
	v_cndmask_b32_e64 v7, 0, 1, vcc
	v_or_b32_e32 v7, v7, v8
	v_lshrrev_b32_e32 v5, 2, v5
	v_add_u32_e32 v5, v5, v7
	v_mov_b32_e32 v7, 0x7c00
	v_cmp_gt_i32_e32 vcc, 31, v6
	v_cndmask_b32_e32 v5, v7, v5, vcc
	v_mov_b32_e32 v8, 0x7e00
	v_cmp_ne_u32_e32 vcc, 0, v4
	s_movk_i32 s4, 0x40f
	v_cndmask_b32_e32 v4, v7, v8, vcc
	v_cmp_eq_u32_e32 vcc, s4, v6
	v_cndmask_b32_e32 v4, v5, v4, vcc
	v_lshrrev_b32_e32 v5, 16, v11
	s_mov_b32 s4, 0x8000
	v_and_or_b32 v4, v5, s4, v4
	global_store_short v[2:3], v4, off
.LBB11_1039:
	s_mov_b64 s[4:5], 0
.LBB11_1040:
	s_andn2_b64 vcc, exec, s[4:5]
	s_cbranch_vccnz .LBB11_1056
; %bb.1041:
	s_cmp_lt_i32 s8, 2
	s_mov_b64 s[4:5], -1
	s_cbranch_scc1 .LBB11_1051
; %bb.1042:
	s_cmp_lt_i32 s8, 3
	s_cbranch_scc1 .LBB11_1048
; %bb.1043:
	s_cmp_gt_i32 s8, 3
	s_cbranch_scc0 .LBB11_1045
; %bb.1044:
	buffer_load_dword v4, off, s[0:3], 0 offset:64 ; 4-byte Folded Reload
	buffer_load_dword v5, off, s[0:3], 0 offset:68 ; 4-byte Folded Reload
	;; [unrolled: 1-line block ×4, first 2 shown]
	s_movk_i32 s4, 0xffe0
	s_waitcnt vmcnt(2)
	v_trunc_f64_e32 v[4:5], v[4:5]
	s_waitcnt vmcnt(0)
	v_ldexp_f64 v[6:7], v[4:5], s4
	s_mov_b32 s4, 0
	s_mov_b32 s5, 0xc1f00000
	v_floor_f64_e32 v[6:7], v[6:7]
	v_fma_f64 v[4:5], v[6:7], s[4:5], v[4:5]
	v_cvt_i32_f64_e32 v6, v[6:7]
	s_mov_b64 s[4:5], 0
	v_cvt_u32_f64_e32 v5, v[4:5]
	global_store_dwordx2 v[2:3], v[5:6], off
.LBB11_1045:
	s_andn2_b64 vcc, exec, s[4:5]
	s_cbranch_vccnz .LBB11_1047
; %bb.1046:
	buffer_load_dword v4, off, s[0:3], 0 offset:64 ; 4-byte Folded Reload
	buffer_load_dword v5, off, s[0:3], 0 offset:68 ; 4-byte Folded Reload
	;; [unrolled: 1-line block ×4, first 2 shown]
	s_waitcnt vmcnt(2)
	v_cvt_i32_f64_e32 v4, v[4:5]
	global_store_dword v[2:3], v4, off
.LBB11_1047:
	s_mov_b64 s[4:5], 0
.LBB11_1048:
	s_andn2_b64 vcc, exec, s[4:5]
	s_cbranch_vccnz .LBB11_1050
; %bb.1049:
	buffer_load_dword v4, off, s[0:3], 0 offset:64 ; 4-byte Folded Reload
	buffer_load_dword v5, off, s[0:3], 0 offset:68 ; 4-byte Folded Reload
	;; [unrolled: 1-line block ×4, first 2 shown]
	s_waitcnt vmcnt(2)
	v_cvt_i32_f64_e32 v4, v[4:5]
	global_store_short v[2:3], v4, off
.LBB11_1050:
	s_mov_b64 s[4:5], 0
.LBB11_1051:
	s_andn2_b64 vcc, exec, s[4:5]
	s_cbranch_vccnz .LBB11_1056
; %bb.1052:
	s_cmp_gt_i32 s8, 0
	s_mov_b64 s[4:5], -1
	s_cbranch_scc0 .LBB11_1054
; %bb.1053:
	buffer_load_dword v4, off, s[0:3], 0 offset:64 ; 4-byte Folded Reload
	buffer_load_dword v5, off, s[0:3], 0 offset:68 ; 4-byte Folded Reload
	;; [unrolled: 1-line block ×4, first 2 shown]
	s_mov_b64 s[4:5], 0
	s_waitcnt vmcnt(2)
	v_cvt_i32_f64_e32 v4, v[4:5]
	global_store_byte v[2:3], v4, off
.LBB11_1054:
	s_andn2_b64 vcc, exec, s[4:5]
	s_cbranch_vccnz .LBB11_1056
; %bb.1055:
	buffer_load_dword v4, off, s[0:3], 0 offset:64 ; 4-byte Folded Reload
	buffer_load_dword v5, off, s[0:3], 0 offset:68 ; 4-byte Folded Reload
	;; [unrolled: 1-line block ×4, first 2 shown]
	s_movk_i32 s4, 0xffe0
	s_waitcnt vmcnt(2)
	v_trunc_f64_e32 v[4:5], v[4:5]
	s_waitcnt vmcnt(0)
	v_ldexp_f64 v[6:7], v[4:5], s4
	s_mov_b32 s4, 0
	s_mov_b32 s5, 0xc1f00000
	v_floor_f64_e32 v[6:7], v[6:7]
	v_fma_f64 v[4:5], v[6:7], s[4:5], v[4:5]
	v_cvt_u32_f64_e32 v4, v[4:5]
	global_store_byte v[2:3], v4, off
.LBB11_1056:
	s_branch .LBB11_942
.LBB11_1057:
	s_mov_b64 s[4:5], 0
	s_mov_b64 s[8:9], 0
                                        ; implicit-def: $sgpr16
                                        ; implicit-def: $vgpr4_vgpr5
.LBB11_1058:
	s_and_b64 s[60:61], s[8:9], exec
	s_andn2_b64 s[8:9], s[48:49], exec
	s_and_b64 s[6:7], s[6:7], exec
	s_and_b64 s[4:5], s[4:5], exec
	s_or_b64 s[48:49], s[8:9], s[6:7]
.LBB11_1059:
	s_or_b64 exec, exec, s[50:51]
	s_and_saveexec_b64 s[6:7], s[48:49]
	s_cbranch_execz .LBB11_1062
; %bb.1060:
	; divergent unreachable
	s_or_b64 exec, exec, s[6:7]
	s_and_saveexec_b64 s[6:7], s[60:61]
	s_xor_b64 s[6:7], exec, s[6:7]
	s_cbranch_execnz .LBB11_1063
.LBB11_1061:
	s_or_b64 exec, exec, s[6:7]
	s_and_saveexec_b64 s[6:7], s[4:5]
	s_cbranch_execnz .LBB11_1064
	s_branch .LBB11_1101
.LBB11_1062:
	s_or_b64 exec, exec, s[6:7]
	s_and_saveexec_b64 s[6:7], s[60:61]
	s_xor_b64 s[6:7], exec, s[6:7]
	s_cbranch_execz .LBB11_1061
.LBB11_1063:
	v_cmp_neq_f64_e32 vcc, 0, v[0:1]
	v_cndmask_b32_e64 v2, 0, 1, vcc
	s_waitcnt vmcnt(10)
	global_store_byte v[4:5], v2, off
	s_or_b64 exec, exec, s[6:7]
	s_and_saveexec_b64 s[6:7], s[4:5]
	s_cbranch_execz .LBB11_1101
.LBB11_1064:
	s_sext_i32_i16 s6, s16
	s_cmp_lt_i32 s6, 5
	s_mov_b64 s[4:5], -1
	s_cbranch_scc1 .LBB11_1085
; %bb.1065:
	s_cmp_lt_i32 s6, 8
	s_cbranch_scc1 .LBB11_1075
; %bb.1066:
	s_cmp_lt_i32 s6, 9
	s_cbranch_scc1 .LBB11_1072
; %bb.1067:
	s_cmp_gt_i32 s6, 9
	s_cbranch_scc0 .LBB11_1069
; %bb.1068:
	v_mov_b32_e32 v2, 0
	v_mov_b32_e32 v3, v2
	s_waitcnt vmcnt(10)
	global_store_dwordx4 v[4:5], v[0:3], off
	s_mov_b64 s[4:5], 0
.LBB11_1069:
	s_andn2_b64 vcc, exec, s[4:5]
	s_cbranch_vccnz .LBB11_1071
; %bb.1070:
	v_cvt_f32_f64_e32 v2, v[0:1]
	v_mov_b32_e32 v3, 0
	s_waitcnt vmcnt(10)
	global_store_dwordx2 v[4:5], v[2:3], off
.LBB11_1071:
	s_mov_b64 s[4:5], 0
.LBB11_1072:
	s_andn2_b64 vcc, exec, s[4:5]
	s_cbranch_vccnz .LBB11_1074
; %bb.1073:
	s_movk_i32 s4, 0x1ff
	v_and_or_b32 v2, v1, s4, v0
	v_cmp_ne_u32_e32 vcc, 0, v2
	v_cndmask_b32_e64 v2, 0, 1, vcc
	v_lshrrev_b32_e32 v3, 8, v1
	s_movk_i32 s4, 0xffe
	s_waitcnt vmcnt(1)
	v_bfe_u32 v6, v1, 20, 11
	v_and_or_b32 v2, v3, s4, v2
	s_waitcnt vmcnt(0)
	v_sub_u32_e32 v7, 0x3f1, v6
	v_or_b32_e32 v3, 0x1000, v2
	v_med3_i32 v7, v7, 0, 13
	v_lshrrev_b32_e32 v8, v7, v3
	v_lshlrev_b32_e32 v7, v7, v8
	v_cmp_ne_u32_e32 vcc, v7, v3
	v_cndmask_b32_e64 v3, 0, 1, vcc
	v_add_u32_e32 v6, 0xfffffc10, v6
	v_or_b32_e32 v3, v8, v3
	v_lshl_or_b32 v7, v6, 12, v2
	v_cmp_gt_i32_e32 vcc, 1, v6
	v_cndmask_b32_e32 v3, v7, v3, vcc
	v_and_b32_e32 v7, 7, v3
	v_cmp_lt_i32_e32 vcc, 5, v7
	v_cndmask_b32_e64 v8, 0, 1, vcc
	v_cmp_eq_u32_e32 vcc, 3, v7
	v_cndmask_b32_e64 v7, 0, 1, vcc
	v_or_b32_e32 v7, v7, v8
	v_lshrrev_b32_e32 v3, 2, v3
	v_add_u32_e32 v3, v3, v7
	v_mov_b32_e32 v7, 0x7c00
	v_cmp_gt_i32_e32 vcc, 31, v6
	v_cndmask_b32_e32 v3, v7, v3, vcc
	v_mov_b32_e32 v8, 0x7e00
	v_cmp_ne_u32_e32 vcc, 0, v2
	s_movk_i32 s4, 0x40f
	v_cndmask_b32_e32 v2, v7, v8, vcc
	v_cmp_eq_u32_e32 vcc, s4, v6
	v_cndmask_b32_e32 v2, v3, v2, vcc
	v_lshrrev_b32_e32 v3, 16, v1
	s_mov_b32 s4, 0x8000
	v_and_or_b32 v2, v3, s4, v2
	v_and_b32_e32 v2, 0xffff, v2
	global_store_dword v[4:5], v2, off
.LBB11_1074:
	s_mov_b64 s[4:5], 0
.LBB11_1075:
	s_andn2_b64 vcc, exec, s[4:5]
	s_cbranch_vccnz .LBB11_1084
; %bb.1076:
	s_sext_i32_i16 s6, s16
	s_cmp_lt_i32 s6, 6
	s_mov_b64 s[4:5], -1
	s_cbranch_scc1 .LBB11_1082
; %bb.1077:
	s_cmp_gt_i32 s6, 6
	s_cbranch_scc0 .LBB11_1079
; %bb.1078:
	s_waitcnt vmcnt(10)
	global_store_dwordx2 v[4:5], v[0:1], off
	s_mov_b64 s[4:5], 0
.LBB11_1079:
	s_andn2_b64 vcc, exec, s[4:5]
	s_cbranch_vccnz .LBB11_1081
; %bb.1080:
	v_cvt_f32_f64_e32 v2, v[0:1]
	s_waitcnt vmcnt(10)
	global_store_dword v[4:5], v2, off
.LBB11_1081:
	s_mov_b64 s[4:5], 0
.LBB11_1082:
	s_andn2_b64 vcc, exec, s[4:5]
	s_cbranch_vccnz .LBB11_1084
; %bb.1083:
	s_movk_i32 s4, 0x1ff
	v_and_or_b32 v2, v1, s4, v0
	v_cmp_ne_u32_e32 vcc, 0, v2
	v_cndmask_b32_e64 v2, 0, 1, vcc
	v_lshrrev_b32_e32 v3, 8, v1
	s_movk_i32 s4, 0xffe
	s_waitcnt vmcnt(1)
	v_bfe_u32 v6, v1, 20, 11
	v_and_or_b32 v2, v3, s4, v2
	s_waitcnt vmcnt(0)
	v_sub_u32_e32 v7, 0x3f1, v6
	v_or_b32_e32 v3, 0x1000, v2
	v_med3_i32 v7, v7, 0, 13
	v_lshrrev_b32_e32 v8, v7, v3
	v_lshlrev_b32_e32 v7, v7, v8
	v_cmp_ne_u32_e32 vcc, v7, v3
	v_cndmask_b32_e64 v3, 0, 1, vcc
	v_add_u32_e32 v6, 0xfffffc10, v6
	v_or_b32_e32 v3, v8, v3
	v_lshl_or_b32 v7, v6, 12, v2
	v_cmp_gt_i32_e32 vcc, 1, v6
	v_cndmask_b32_e32 v3, v7, v3, vcc
	v_and_b32_e32 v7, 7, v3
	v_cmp_lt_i32_e32 vcc, 5, v7
	v_cndmask_b32_e64 v8, 0, 1, vcc
	v_cmp_eq_u32_e32 vcc, 3, v7
	v_cndmask_b32_e64 v7, 0, 1, vcc
	v_or_b32_e32 v7, v7, v8
	v_lshrrev_b32_e32 v3, 2, v3
	v_add_u32_e32 v3, v3, v7
	v_mov_b32_e32 v7, 0x7c00
	v_cmp_gt_i32_e32 vcc, 31, v6
	v_cndmask_b32_e32 v3, v7, v3, vcc
	v_mov_b32_e32 v8, 0x7e00
	v_cmp_ne_u32_e32 vcc, 0, v2
	s_movk_i32 s4, 0x40f
	v_cndmask_b32_e32 v2, v7, v8, vcc
	v_cmp_eq_u32_e32 vcc, s4, v6
	v_cndmask_b32_e32 v2, v3, v2, vcc
	v_lshrrev_b32_e32 v3, 16, v1
	s_mov_b32 s4, 0x8000
	v_and_or_b32 v2, v3, s4, v2
	global_store_short v[4:5], v2, off
.LBB11_1084:
	s_mov_b64 s[4:5], 0
.LBB11_1085:
	s_andn2_b64 vcc, exec, s[4:5]
	s_cbranch_vccnz .LBB11_1101
; %bb.1086:
	s_sext_i32_i16 s6, s16
	s_cmp_lt_i32 s6, 2
	s_mov_b64 s[4:5], -1
	s_cbranch_scc1 .LBB11_1096
; %bb.1087:
	s_cmp_lt_i32 s6, 3
	s_cbranch_scc1 .LBB11_1093
; %bb.1088:
	s_cmp_gt_i32 s6, 3
	s_cbranch_scc0 .LBB11_1090
; %bb.1089:
	v_trunc_f64_e32 v[2:3], v[0:1]
	s_movk_i32 s4, 0xffe0
	s_waitcnt vmcnt(0)
	v_ldexp_f64 v[6:7], v[2:3], s4
	s_mov_b32 s4, 0
	s_mov_b32 s5, 0xc1f00000
	v_floor_f64_e32 v[6:7], v[6:7]
	v_fma_f64 v[2:3], v[6:7], s[4:5], v[2:3]
	v_cvt_i32_f64_e32 v7, v[6:7]
	s_mov_b64 s[4:5], 0
	v_cvt_u32_f64_e32 v6, v[2:3]
	global_store_dwordx2 v[4:5], v[6:7], off
.LBB11_1090:
	s_andn2_b64 vcc, exec, s[4:5]
	s_cbranch_vccnz .LBB11_1092
; %bb.1091:
	v_cvt_i32_f64_e32 v2, v[0:1]
	s_waitcnt vmcnt(10)
	global_store_dword v[4:5], v2, off
.LBB11_1092:
	s_mov_b64 s[4:5], 0
.LBB11_1093:
	s_andn2_b64 vcc, exec, s[4:5]
	s_cbranch_vccnz .LBB11_1095
; %bb.1094:
	v_cvt_i32_f64_e32 v2, v[0:1]
	s_waitcnt vmcnt(10)
	global_store_short v[4:5], v2, off
.LBB11_1095:
	s_mov_b64 s[4:5], 0
.LBB11_1096:
	s_andn2_b64 vcc, exec, s[4:5]
	s_cbranch_vccnz .LBB11_1101
; %bb.1097:
	s_sext_i32_i16 s4, s16
	s_cmp_gt_i32 s4, 0
	s_mov_b64 s[4:5], -1
	s_cbranch_scc0 .LBB11_1099
; %bb.1098:
	v_cvt_i32_f64_e32 v2, v[0:1]
	s_mov_b64 s[4:5], 0
	s_waitcnt vmcnt(10)
	global_store_byte v[4:5], v2, off
.LBB11_1099:
	s_andn2_b64 vcc, exec, s[4:5]
	s_cbranch_vccnz .LBB11_1101
; %bb.1100:
	v_trunc_f64_e32 v[0:1], v[0:1]
	s_movk_i32 s4, 0xffe0
	v_ldexp_f64 v[2:3], v[0:1], s4
	s_mov_b32 s4, 0
	s_mov_b32 s5, 0xc1f00000
	v_floor_f64_e32 v[2:3], v[2:3]
	v_fma_f64 v[0:1], v[2:3], s[4:5], v[0:1]
	v_cvt_u32_f64_e32 v0, v[0:1]
	s_waitcnt vmcnt(10)
	global_store_byte v[4:5], v0, off
	s_endpgm
.LBB11_1101:
	s_endpgm
.LBB11_1102:
	s_mov_b64 s[8:9], 0
	s_mov_b64 s[4:5], -1
	s_branch .LBB11_1058
.LBB11_1103:
	s_andn2_saveexec_b64 s[12:13], s[12:13]
	s_cbranch_execz .LBB11_655
.LBB11_1104:
	s_mov_b32 s16, 0x46000000
	v_add_f32_e64 v5, |v4|, s16
	v_and_b32_e32 v5, 0xff, v5
	v_cmp_ne_u32_e32 vcc, 0, v5
	s_andn2_b64 s[10:11], s[10:11], exec
	s_and_b64 s[16:17], vcc, exec
	s_or_b64 s[10:11], s[10:11], s[16:17]
	s_or_b64 exec, exec, s[12:13]
	v_mov_b32_e32 v6, 0
	s_and_saveexec_b64 s[12:13], s[10:11]
	s_cbranch_execnz .LBB11_656
	s_branch .LBB11_657
.LBB11_1105:
	s_or_b64 s[6:7], s[48:49], exec
	s_trap 2
	s_cbranch_execz .LBB11_703
	s_branch .LBB11_704
.LBB11_1106:
	s_andn2_saveexec_b64 s[10:11], s[10:11]
	s_cbranch_execz .LBB11_668
.LBB11_1107:
	s_mov_b32 s12, 0x42800000
	v_add_f32_e64 v5, |v4|, s12
	v_and_b32_e32 v5, 0xff, v5
	v_cmp_ne_u32_e32 vcc, 0, v5
	s_andn2_b64 s[8:9], s[8:9], exec
	s_and_b64 s[12:13], vcc, exec
	s_or_b64 s[8:9], s[8:9], s[12:13]
	s_or_b64 exec, exec, s[10:11]
	v_mov_b32_e32 v6, 0
	s_and_saveexec_b64 s[10:11], s[8:9]
	s_cbranch_execnz .LBB11_669
	s_branch .LBB11_670
.LBB11_1108:
	s_andn2_saveexec_b64 s[14:15], s[14:15]
	s_cbranch_execz .LBB11_773
.LBB11_1109:
	s_mov_b32 s18, 0x46000000
	v_add_f32_e64 v5, |v4|, s18
	v_and_b32_e32 v5, 0xff, v5
	v_cmp_ne_u32_e32 vcc, 0, v5
	s_andn2_b64 s[12:13], s[12:13], exec
	s_and_b64 s[18:19], vcc, exec
	s_or_b64 s[12:13], s[12:13], s[18:19]
	s_or_b64 exec, exec, s[14:15]
	v_mov_b32_e32 v6, 0
	s_and_saveexec_b64 s[14:15], s[12:13]
	s_cbranch_execnz .LBB11_774
	s_branch .LBB11_775
.LBB11_1110:
	s_trap 2
	s_or_b64 s[6:7], s[6:7], exec
	s_cbranch_execz .LBB11_821
	s_branch .LBB11_822
.LBB11_1111:
	s_andn2_saveexec_b64 s[12:13], s[12:13]
	s_cbranch_execz .LBB11_786
.LBB11_1112:
	s_mov_b32 s14, 0x42800000
	v_add_f32_e64 v5, |v4|, s14
	v_and_b32_e32 v5, 0xff, v5
	v_cmp_ne_u32_e32 vcc, 0, v5
	s_andn2_b64 s[10:11], s[10:11], exec
	s_and_b64 s[14:15], vcc, exec
	s_or_b64 s[10:11], s[10:11], s[14:15]
	s_or_b64 exec, exec, s[12:13]
	v_mov_b32_e32 v6, 0
	s_and_saveexec_b64 s[12:13], s[10:11]
	s_cbranch_execnz .LBB11_787
	s_branch .LBB11_788
.LBB11_1113:
	s_andn2_saveexec_b64 s[14:15], s[14:15]
	s_cbranch_execz .LBB11_891
.LBB11_1114:
	s_mov_b32 s18, 0x46000000
	v_add_f32_e64 v5, |v4|, s18
	v_and_b32_e32 v5, 0xff, v5
	v_cmp_ne_u32_e32 vcc, 0, v5
	s_andn2_b64 s[12:13], s[12:13], exec
	s_and_b64 s[18:19], vcc, exec
	s_or_b64 s[12:13], s[12:13], s[18:19]
	s_or_b64 exec, exec, s[14:15]
	v_mov_b32_e32 v6, 0
	s_and_saveexec_b64 s[14:15], s[12:13]
	s_cbranch_execnz .LBB11_892
	s_branch .LBB11_893
.LBB11_1115:
	s_trap 2
	s_or_b64 s[6:7], s[6:7], exec
	s_cbranch_execz .LBB11_939
	s_branch .LBB11_940
.LBB11_1116:
	s_andn2_saveexec_b64 s[12:13], s[12:13]
	s_cbranch_execz .LBB11_904
.LBB11_1117:
	s_mov_b32 s14, 0x42800000
	v_add_f32_e64 v5, |v4|, s14
	v_and_b32_e32 v5, 0xff, v5
	v_cmp_ne_u32_e32 vcc, 0, v5
	s_andn2_b64 s[10:11], s[10:11], exec
	s_and_b64 s[14:15], vcc, exec
	s_or_b64 s[10:11], s[10:11], s[14:15]
	s_or_b64 exec, exec, s[12:13]
	v_mov_b32_e32 v6, 0
	s_and_saveexec_b64 s[12:13], s[10:11]
	s_cbranch_execnz .LBB11_905
	s_branch .LBB11_906
.LBB11_1118:
	s_andn2_saveexec_b64 s[14:15], s[14:15]
	s_cbranch_execz .LBB11_971
.LBB11_1119:
	s_mov_b32 s18, 0x46000000
	v_add_f32_e64 v3, |v2|, s18
	v_and_b32_e32 v3, 0xff, v3
	v_cmp_ne_u32_e32 vcc, 0, v3
	s_andn2_b64 s[12:13], s[12:13], exec
	s_and_b64 s[18:19], vcc, exec
	s_or_b64 s[12:13], s[12:13], s[18:19]
	s_or_b64 exec, exec, s[14:15]
	v_mov_b32_e32 v6, 0
	s_and_saveexec_b64 s[14:15], s[12:13]
	s_cbranch_execnz .LBB11_972
	s_branch .LBB11_973
.LBB11_1120:
	s_mov_b64 s[8:9], 0
	s_or_b64 s[6:7], s[6:7], exec
	s_trap 2
	s_branch .LBB11_1017
.LBB11_1121:
	s_andn2_saveexec_b64 s[10:11], s[10:11]
	s_cbranch_execz .LBB11_480
.LBB11_1122:
	s_mov_b32 s12, 0x46000000
	v_add_f32_e64 v3, |v2|, s12
	v_and_b32_e32 v3, 0xff, v3
	v_cmp_ne_u32_e32 vcc, 0, v3
	s_andn2_b64 s[8:9], s[8:9], exec
	s_and_b64 s[12:13], vcc, exec
	s_or_b64 s[8:9], s[8:9], s[12:13]
	s_or_b64 exec, exec, s[10:11]
	v_mov_b32_e32 v6, 0
	s_and_saveexec_b64 s[10:11], s[8:9]
	s_cbranch_execnz .LBB11_481
	s_branch .LBB11_482
.LBB11_1123:
	s_andn2_saveexec_b64 s[12:13], s[12:13]
	s_cbranch_execz .LBB11_983
.LBB11_1124:
	s_mov_b32 s14, 0x42800000
	v_add_f32_e64 v3, |v2|, s14
	v_and_b32_e32 v3, 0xff, v3
	v_cmp_ne_u32_e32 vcc, 0, v3
	s_andn2_b64 s[10:11], s[10:11], exec
	s_and_b64 s[14:15], vcc, exec
	s_or_b64 s[10:11], s[10:11], s[14:15]
	s_or_b64 exec, exec, s[12:13]
	v_mov_b32_e32 v6, 0
	s_and_saveexec_b64 s[12:13], s[10:11]
	s_cbranch_execnz .LBB11_984
	s_branch .LBB11_985
.LBB11_1125:
	s_andn2_saveexec_b64 s[12:13], s[12:13]
	s_cbranch_execz .LBB11_492
.LBB11_1126:
	s_mov_b32 s16, 0x42800000
	v_add_f32_e64 v3, |v2|, s16
	v_and_b32_e32 v3, 0xff, v3
	v_cmp_ne_u32_e32 vcc, 0, v3
	s_andn2_b64 s[10:11], s[10:11], exec
	s_and_b64 s[16:17], vcc, exec
	s_or_b64 s[10:11], s[10:11], s[16:17]
	s_or_b64 exec, exec, s[12:13]
	v_mov_b32_e32 v6, 0
	s_and_saveexec_b64 s[12:13], s[10:11]
	s_cbranch_execnz .LBB11_493
	s_branch .LBB11_494
	.section	.rodata,"a",@progbits
	.p2align	6, 0x0
	.amdhsa_kernel _ZN2at6native32elementwise_kernel_manual_unrollILi128ELi4EZNS0_15gpu_kernel_implIZZZNS0_12_GLOBAL__N_121bessel_y0_kernel_cudaERNS_18TensorIteratorBaseEENKUlvE_clEvENKUlvE_clEvEUldE_EEvS5_RKT_EUlibE0_EEviT1_
		.amdhsa_group_segment_fixed_size 0
		.amdhsa_private_segment_fixed_size 156
		.amdhsa_kernarg_size 360
		.amdhsa_user_sgpr_count 6
		.amdhsa_user_sgpr_private_segment_buffer 1
		.amdhsa_user_sgpr_dispatch_ptr 0
		.amdhsa_user_sgpr_queue_ptr 0
		.amdhsa_user_sgpr_kernarg_segment_ptr 1
		.amdhsa_user_sgpr_dispatch_id 0
		.amdhsa_user_sgpr_flat_scratch_init 0
		.amdhsa_user_sgpr_private_segment_size 0
		.amdhsa_uses_dynamic_stack 0
		.amdhsa_system_sgpr_private_segment_wavefront_offset 1
		.amdhsa_system_sgpr_workgroup_id_x 1
		.amdhsa_system_sgpr_workgroup_id_y 0
		.amdhsa_system_sgpr_workgroup_id_z 0
		.amdhsa_system_sgpr_workgroup_info 0
		.amdhsa_system_vgpr_workitem_id 0
		.amdhsa_next_free_vgpr 64
		.amdhsa_next_free_sgpr 91
		.amdhsa_reserve_vcc 1
		.amdhsa_reserve_flat_scratch 0
		.amdhsa_float_round_mode_32 0
		.amdhsa_float_round_mode_16_64 0
		.amdhsa_float_denorm_mode_32 3
		.amdhsa_float_denorm_mode_16_64 3
		.amdhsa_dx10_clamp 1
		.amdhsa_ieee_mode 1
		.amdhsa_fp16_overflow 0
		.amdhsa_exception_fp_ieee_invalid_op 0
		.amdhsa_exception_fp_denorm_src 0
		.amdhsa_exception_fp_ieee_div_zero 0
		.amdhsa_exception_fp_ieee_overflow 0
		.amdhsa_exception_fp_ieee_underflow 0
		.amdhsa_exception_fp_ieee_inexact 0
		.amdhsa_exception_int_div_zero 0
	.end_amdhsa_kernel
	.section	.text._ZN2at6native32elementwise_kernel_manual_unrollILi128ELi4EZNS0_15gpu_kernel_implIZZZNS0_12_GLOBAL__N_121bessel_y0_kernel_cudaERNS_18TensorIteratorBaseEENKUlvE_clEvENKUlvE_clEvEUldE_EEvS5_RKT_EUlibE0_EEviT1_,"axG",@progbits,_ZN2at6native32elementwise_kernel_manual_unrollILi128ELi4EZNS0_15gpu_kernel_implIZZZNS0_12_GLOBAL__N_121bessel_y0_kernel_cudaERNS_18TensorIteratorBaseEENKUlvE_clEvENKUlvE_clEvEUldE_EEvS5_RKT_EUlibE0_EEviT1_,comdat
.Lfunc_end11:
	.size	_ZN2at6native32elementwise_kernel_manual_unrollILi128ELi4EZNS0_15gpu_kernel_implIZZZNS0_12_GLOBAL__N_121bessel_y0_kernel_cudaERNS_18TensorIteratorBaseEENKUlvE_clEvENKUlvE_clEvEUldE_EEvS5_RKT_EUlibE0_EEviT1_, .Lfunc_end11-_ZN2at6native32elementwise_kernel_manual_unrollILi128ELi4EZNS0_15gpu_kernel_implIZZZNS0_12_GLOBAL__N_121bessel_y0_kernel_cudaERNS_18TensorIteratorBaseEENKUlvE_clEvENKUlvE_clEvEUldE_EEvS5_RKT_EUlibE0_EEviT1_
                                        ; -- End function
	.set _ZN2at6native32elementwise_kernel_manual_unrollILi128ELi4EZNS0_15gpu_kernel_implIZZZNS0_12_GLOBAL__N_121bessel_y0_kernel_cudaERNS_18TensorIteratorBaseEENKUlvE_clEvENKUlvE_clEvEUldE_EEvS5_RKT_EUlibE0_EEviT1_.num_vgpr, max(64, .L_ZN2at6native6invokeIZZZNS0_12_GLOBAL__N_121bessel_y0_kernel_cudaERNS_18TensorIteratorBaseEENKUlvE_clEvENKUlvE_clEvEUldE_j15function_traitsIS7_EEENT1_11result_typeERKT_PrKPcPKT0_PKN3c1010ScalarTypeEi.num_vgpr)
	.set _ZN2at6native32elementwise_kernel_manual_unrollILi128ELi4EZNS0_15gpu_kernel_implIZZZNS0_12_GLOBAL__N_121bessel_y0_kernel_cudaERNS_18TensorIteratorBaseEENKUlvE_clEvENKUlvE_clEvEUldE_EEvS5_RKT_EUlibE0_EEviT1_.num_agpr, max(0, .L_ZN2at6native6invokeIZZZNS0_12_GLOBAL__N_121bessel_y0_kernel_cudaERNS_18TensorIteratorBaseEENKUlvE_clEvENKUlvE_clEvEUldE_j15function_traitsIS7_EEENT1_11result_typeERKT_PrKPcPKT0_PKN3c1010ScalarTypeEi.num_agpr)
	.set _ZN2at6native32elementwise_kernel_manual_unrollILi128ELi4EZNS0_15gpu_kernel_implIZZZNS0_12_GLOBAL__N_121bessel_y0_kernel_cudaERNS_18TensorIteratorBaseEENKUlvE_clEvENKUlvE_clEvEUldE_EEvS5_RKT_EUlibE0_EEviT1_.numbered_sgpr, max(91, .L_ZN2at6native6invokeIZZZNS0_12_GLOBAL__N_121bessel_y0_kernel_cudaERNS_18TensorIteratorBaseEENKUlvE_clEvENKUlvE_clEvEUldE_j15function_traitsIS7_EEENT1_11result_typeERKT_PrKPcPKT0_PKN3c1010ScalarTypeEi.numbered_sgpr)
	.set _ZN2at6native32elementwise_kernel_manual_unrollILi128ELi4EZNS0_15gpu_kernel_implIZZZNS0_12_GLOBAL__N_121bessel_y0_kernel_cudaERNS_18TensorIteratorBaseEENKUlvE_clEvENKUlvE_clEvEUldE_EEvS5_RKT_EUlibE0_EEviT1_.num_named_barrier, max(0, .L_ZN2at6native6invokeIZZZNS0_12_GLOBAL__N_121bessel_y0_kernel_cudaERNS_18TensorIteratorBaseEENKUlvE_clEvENKUlvE_clEvEUldE_j15function_traitsIS7_EEENT1_11result_typeERKT_PrKPcPKT0_PKN3c1010ScalarTypeEi.num_named_barrier)
	.set _ZN2at6native32elementwise_kernel_manual_unrollILi128ELi4EZNS0_15gpu_kernel_implIZZZNS0_12_GLOBAL__N_121bessel_y0_kernel_cudaERNS_18TensorIteratorBaseEENKUlvE_clEvENKUlvE_clEvEUldE_EEvS5_RKT_EUlibE0_EEviT1_.private_seg_size, 96+max(.L_ZN2at6native6invokeIZZZNS0_12_GLOBAL__N_121bessel_y0_kernel_cudaERNS_18TensorIteratorBaseEENKUlvE_clEvENKUlvE_clEvEUldE_j15function_traitsIS7_EEENT1_11result_typeERKT_PrKPcPKT0_PKN3c1010ScalarTypeEi.private_seg_size)
	.set _ZN2at6native32elementwise_kernel_manual_unrollILi128ELi4EZNS0_15gpu_kernel_implIZZZNS0_12_GLOBAL__N_121bessel_y0_kernel_cudaERNS_18TensorIteratorBaseEENKUlvE_clEvENKUlvE_clEvEUldE_EEvS5_RKT_EUlibE0_EEviT1_.uses_vcc, or(1, .L_ZN2at6native6invokeIZZZNS0_12_GLOBAL__N_121bessel_y0_kernel_cudaERNS_18TensorIteratorBaseEENKUlvE_clEvENKUlvE_clEvEUldE_j15function_traitsIS7_EEENT1_11result_typeERKT_PrKPcPKT0_PKN3c1010ScalarTypeEi.uses_vcc)
	.set _ZN2at6native32elementwise_kernel_manual_unrollILi128ELi4EZNS0_15gpu_kernel_implIZZZNS0_12_GLOBAL__N_121bessel_y0_kernel_cudaERNS_18TensorIteratorBaseEENKUlvE_clEvENKUlvE_clEvEUldE_EEvS5_RKT_EUlibE0_EEviT1_.uses_flat_scratch, or(0, .L_ZN2at6native6invokeIZZZNS0_12_GLOBAL__N_121bessel_y0_kernel_cudaERNS_18TensorIteratorBaseEENKUlvE_clEvENKUlvE_clEvEUldE_j15function_traitsIS7_EEENT1_11result_typeERKT_PrKPcPKT0_PKN3c1010ScalarTypeEi.uses_flat_scratch)
	.set _ZN2at6native32elementwise_kernel_manual_unrollILi128ELi4EZNS0_15gpu_kernel_implIZZZNS0_12_GLOBAL__N_121bessel_y0_kernel_cudaERNS_18TensorIteratorBaseEENKUlvE_clEvENKUlvE_clEvEUldE_EEvS5_RKT_EUlibE0_EEviT1_.has_dyn_sized_stack, or(0, .L_ZN2at6native6invokeIZZZNS0_12_GLOBAL__N_121bessel_y0_kernel_cudaERNS_18TensorIteratorBaseEENKUlvE_clEvENKUlvE_clEvEUldE_j15function_traitsIS7_EEENT1_11result_typeERKT_PrKPcPKT0_PKN3c1010ScalarTypeEi.has_dyn_sized_stack)
	.set _ZN2at6native32elementwise_kernel_manual_unrollILi128ELi4EZNS0_15gpu_kernel_implIZZZNS0_12_GLOBAL__N_121bessel_y0_kernel_cudaERNS_18TensorIteratorBaseEENKUlvE_clEvENKUlvE_clEvEUldE_EEvS5_RKT_EUlibE0_EEviT1_.has_recursion, or(0, .L_ZN2at6native6invokeIZZZNS0_12_GLOBAL__N_121bessel_y0_kernel_cudaERNS_18TensorIteratorBaseEENKUlvE_clEvENKUlvE_clEvEUldE_j15function_traitsIS7_EEENT1_11result_typeERKT_PrKPcPKT0_PKN3c1010ScalarTypeEi.has_recursion)
	.set _ZN2at6native32elementwise_kernel_manual_unrollILi128ELi4EZNS0_15gpu_kernel_implIZZZNS0_12_GLOBAL__N_121bessel_y0_kernel_cudaERNS_18TensorIteratorBaseEENKUlvE_clEvENKUlvE_clEvEUldE_EEvS5_RKT_EUlibE0_EEviT1_.has_indirect_call, or(0, .L_ZN2at6native6invokeIZZZNS0_12_GLOBAL__N_121bessel_y0_kernel_cudaERNS_18TensorIteratorBaseEENKUlvE_clEvENKUlvE_clEvEUldE_j15function_traitsIS7_EEENT1_11result_typeERKT_PrKPcPKT0_PKN3c1010ScalarTypeEi.has_indirect_call)
	.section	.AMDGPU.csdata,"",@progbits
; Kernel info:
; codeLenInByte = 28296
; TotalNumSgprs: 95
; NumVgprs: 64
; ScratchSize: 156
; MemoryBound: 0
; FloatMode: 240
; IeeeMode: 1
; LDSByteSize: 0 bytes/workgroup (compile time only)
; SGPRBlocks: 11
; VGPRBlocks: 15
; NumSGPRsForWavesPerEU: 95
; NumVGPRsForWavesPerEU: 64
; Occupancy: 4
; WaveLimiterHint : 1
; COMPUTE_PGM_RSRC2:SCRATCH_EN: 1
; COMPUTE_PGM_RSRC2:USER_SGPR: 6
; COMPUTE_PGM_RSRC2:TRAP_HANDLER: 0
; COMPUTE_PGM_RSRC2:TGID_X_EN: 1
; COMPUTE_PGM_RSRC2:TGID_Y_EN: 0
; COMPUTE_PGM_RSRC2:TGID_Z_EN: 0
; COMPUTE_PGM_RSRC2:TIDIG_COMP_CNT: 0
	.text
	.p2align	2                               ; -- Begin function _ZN2at6native25elementwise_kernel_helperILb0EZZZNS0_12_GLOBAL__N_121bessel_y0_kernel_cudaERNS_18TensorIteratorBaseEENKUlvE_clEvENKUlvE0_clEvEUlfE_NS0_6memory8policies11unroll_baseILi256ESt5arrayIPcLm2EE23TrivialOffsetCalculatorILi1EjESF_NS8_15LoadWithoutCastENS8_16StoreWithoutCastELi4ELi1EEEEEvT0_T1_
	.type	_ZN2at6native25elementwise_kernel_helperILb0EZZZNS0_12_GLOBAL__N_121bessel_y0_kernel_cudaERNS_18TensorIteratorBaseEENKUlvE_clEvENKUlvE0_clEvEUlfE_NS0_6memory8policies11unroll_baseILi256ESt5arrayIPcLm2EE23TrivialOffsetCalculatorILi1EjESF_NS8_15LoadWithoutCastENS8_16StoreWithoutCastELi4ELi1EEEEEvT0_T1_,@function
_ZN2at6native25elementwise_kernel_helperILb0EZZZNS0_12_GLOBAL__N_121bessel_y0_kernel_cudaERNS_18TensorIteratorBaseEENKUlvE_clEvENKUlvE0_clEvEUlfE_NS0_6memory8policies11unroll_baseILi256ESt5arrayIPcLm2EE23TrivialOffsetCalculatorILi1EjESF_NS8_15LoadWithoutCastENS8_16StoreWithoutCastELi4ELi1EEEEEvT0_T1_: ; @_ZN2at6native25elementwise_kernel_helperILb0EZZZNS0_12_GLOBAL__N_121bessel_y0_kernel_cudaERNS_18TensorIteratorBaseEENKUlvE_clEvENKUlvE0_clEvEUlfE_NS0_6memory8policies11unroll_baseILi256ESt5arrayIPcLm2EE23TrivialOffsetCalculatorILi1EjESF_NS8_15LoadWithoutCastENS8_16StoreWithoutCastELi4ELi1EEEEEvT0_T1_
; %bb.0:
	s_waitcnt vmcnt(0) expcnt(0) lgkmcnt(0)
	v_and_b32_e32 v7, 0x3ff, v31
	s_lshl_b32 s20, s12, 10
	v_cmp_lt_i32_e64 s[4:5], v7, v4
	v_mov_b32_e32 v12, 0
	v_or_b32_e32 v5, s20, v7
	v_mov_b32_e32 v13, 0
	v_mov_b32_e32 v9, v7
	s_and_saveexec_b64 s[6:7], s[4:5]
	s_cbranch_execz .LBB12_2
; %bb.1:
	v_mov_b32_e32 v6, 0
	v_lshlrev_b64 v[8:9], 2, v[5:6]
	v_add_co_u32_e32 v8, vcc, v2, v8
	v_addc_co_u32_e32 v9, vcc, v3, v9, vcc
	flat_load_dword v13, v[8:9]
	v_add_u32_e32 v9, 0x100, v7
.LBB12_2:
	s_or_b64 exec, exec, s[6:7]
	v_cmp_lt_i32_e32 vcc, v9, v4
	s_and_saveexec_b64 s[6:7], vcc
	s_cbranch_execz .LBB12_4
; %bb.3:
	v_add_u32_e32 v10, s20, v9
	v_mov_b32_e32 v11, 0
	v_lshlrev_b64 v[10:11], 2, v[10:11]
	v_add_u32_e32 v9, 0x100, v9
	v_add_co_u32_e32 v10, vcc, v2, v10
	v_addc_co_u32_e32 v11, vcc, v3, v11, vcc
	flat_load_dword v12, v[10:11]
.LBB12_4:
	s_or_b64 exec, exec, s[6:7]
	v_cmp_lt_i32_e32 vcc, v9, v4
	v_mov_b32_e32 v6, 0
	v_mov_b32_e32 v8, 0
	s_and_saveexec_b64 s[6:7], vcc
	s_cbranch_execz .LBB12_6
; %bb.5:
	v_add_u32_e32 v10, s20, v9
	v_mov_b32_e32 v11, 0
	v_lshlrev_b64 v[10:11], 2, v[10:11]
	v_add_u32_e32 v9, 0x100, v9
	v_add_co_u32_e32 v10, vcc, v2, v10
	v_addc_co_u32_e32 v11, vcc, v3, v11, vcc
	flat_load_dword v8, v[10:11]
.LBB12_6:
	s_or_b64 exec, exec, s[6:7]
	v_cmp_lt_i32_e32 vcc, v9, v4
	s_and_saveexec_b64 s[6:7], vcc
	s_cbranch_execz .LBB12_8
; %bb.7:
	v_add_u32_e32 v9, s20, v9
	v_mov_b32_e32 v10, 0
	v_lshlrev_b64 v[9:10], 2, v[9:10]
	v_add_co_u32_e32 v2, vcc, v2, v9
	v_addc_co_u32_e32 v3, vcc, v3, v10, vcc
	flat_load_dword v6, v[2:3]
.LBB12_8:
	s_or_b64 exec, exec, s[6:7]
	v_mov_b32_e32 v2, 0
	v_mov_b32_e32 v11, v2
	;; [unrolled: 1-line block ×4, first 2 shown]
	s_and_saveexec_b64 s[12:13], s[4:5]
	s_cbranch_execz .LBB12_30
; %bb.9:
	s_mov_b32 s6, 0x40a00000
	s_waitcnt vmcnt(0) lgkmcnt(0)
	v_cmp_ge_f32_e32 vcc, s6, v13
                                        ; implicit-def: $vgpr2
	s_and_saveexec_b64 s[6:7], vcc
	s_xor_b64 s[8:9], exec, s[6:7]
	s_cbranch_execz .LBB12_19
; %bb.10:
	v_cmp_neq_f32_e32 vcc, 0, v13
	v_mov_b32_e32 v2, 0xff800000
	s_and_saveexec_b64 s[10:11], vcc
	s_cbranch_execz .LBB12_18
; %bb.11:
	v_cmp_ngt_f32_e32 vcc, 0, v13
	v_mov_b32_e32 v2, 0x7fc00000
	s_and_saveexec_b64 s[14:15], vcc
	s_cbranch_execz .LBB12_17
; %bb.12:
	v_mul_f32_e32 v2, v13, v13
	s_mov_b32 s6, 0x3727c5ac
	v_mul_f32_e32 v9, 0, v2
	v_cmp_ngt_f32_e32 vcc, s6, v13
                                        ; implicit-def: $vgpr3
	s_and_saveexec_b64 s[6:7], vcc
	s_xor_b64 s[6:7], exec, s[6:7]
	s_cbranch_execz .LBB12_14
; %bb.13:
	v_add_f32_e32 v3, 0xcf8ee29d, v9
	v_mov_b32_e32 v10, 0x53e3ba8e
	v_fmac_f32_e32 v10, v2, v3
	v_mov_b32_e32 v3, 0xd762b0a7
	v_fmac_f32_e32 v3, v2, v10
	v_add_f32_e32 v10, 0x43f9c815, v9
	v_mov_b32_e32 v11, 0x4829b65a
	v_fmac_f32_e32 v11, v2, v10
	v_mov_b32_e32 v10, 0x4c38c9a1
	v_fmac_f32_e32 v10, v2, v11
	;; [unrolled: 2-line block ×8, first 2 shown]
	v_add_f32_e32 v3, 0xc0b90fdc, v2
	v_add_f32_e32 v14, 0xc1f3c525, v2
	v_mul_f32_e32 v3, v3, v14
	v_mul_f32_e32 v3, v3, v10
	v_div_scale_f32 v10, s[16:17], v11, v11, v3
	v_div_scale_f32 v14, vcc, v3, v11, v3
	v_rcp_f32_e32 v15, v10
	v_fma_f32 v16, -v10, v15, 1.0
	v_fmac_f32_e32 v15, v16, v15
	v_mul_f32_e32 v16, v14, v15
	v_fma_f32 v17, -v10, v16, v14
	v_fmac_f32_e32 v16, v17, v15
	v_fma_f32 v10, -v10, v16, v14
	v_div_fmas_f32 v10, v10, v15, v16
	v_div_fixup_f32 v3, v10, v11, v3
.LBB12_14:
	s_andn2_saveexec_b64 s[6:7], s[6:7]
; %bb.15:
	s_mov_b32 s16, 0xbe800000
	v_fma_f32 v3, v2, s16, 1.0
; %bb.16:
	s_or_b64 exec, exec, s[6:7]
	v_add_f32_e32 v10, 0x4673a1bf, v9
	v_mov_b32_e32 v11, 0xcb5fc0fa
	v_fmac_f32_e32 v11, v2, v10
	v_mov_b32_e32 v10, 0x4fa1fbc8
	v_fmac_f32_e32 v10, v2, v11
	;; [unrolled: 2-line block ×6, first 2 shown]
	v_add_f32_e32 v9, 0x44822913, v9
	v_mov_b32_e32 v11, 0x4918dbb5
	v_fmac_f32_e32 v11, v2, v9
	v_mov_b32_e32 v9, 0x4d803b1b
	v_fmac_f32_e32 v9, v2, v11
	v_mov_b32_e32 v11, 0x51a0eed9
	v_fmac_f32_e32 v11, v2, v9
	v_mov_b32_e32 v9, 0x5593afe6
	v_fmac_f32_e32 v9, v2, v11
	v_mov_b32_e32 v11, 0x59344887
	v_fmac_f32_e32 v11, v2, v9
	v_mov_b32_e32 v9, 0x5c5e92fe
	v_fmac_f32_e32 v9, v2, v11
	v_mov_b32_e32 v11, 0xda836a5b
	v_fmac_f32_e32 v11, v2, v10
	v_div_scale_f32 v2, s[6:7], v9, v9, v11
	v_div_scale_f32 v10, vcc, v11, v9, v11
	s_mov_b32 s6, 0x800000
	v_rcp_f32_e32 v14, v2
	v_fma_f32 v15, -v2, v14, 1.0
	v_fmac_f32_e32 v14, v15, v14
	v_mul_f32_e32 v15, v10, v14
	v_fma_f32 v16, -v2, v15, v10
	v_fmac_f32_e32 v15, v16, v14
	v_fma_f32 v2, -v2, v15, v10
	v_div_fmas_f32 v2, v2, v14, v15
	v_cmp_gt_f32_e32 vcc, s6, v13
	v_cndmask_b32_e64 v10, 0, 32, vcc
	v_ldexp_f32 v10, v13, v10
	v_log_f32_e32 v10, v10
	s_mov_b32 s6, 0x3f317217
	v_mul_f32_e32 v13, 0x3f317217, v10
	v_fma_f32 v13, v10, s6, -v13
	v_fmac_f32_e32 v13, 0x3377d1cf, v10
	s_mov_b32 s6, 0x7f800000
	v_fmac_f32_e32 v13, 0x3f317217, v10
	v_cmp_lt_f32_e64 s[6:7], |v10|, s6
	v_div_fixup_f32 v2, v2, v9, v11
	v_cndmask_b32_e64 v9, v10, v13, s[6:7]
	v_mov_b32_e32 v10, 0x41b17218
	v_cndmask_b32_e32 v10, 0, v10, vcc
	v_sub_f32_e32 v9, v9, v10
	v_mul_f32_e32 v9, 0x3f22f983, v9
	v_fmac_f32_e32 v2, v9, v3
.LBB12_17:
	s_or_b64 exec, exec, s[14:15]
.LBB12_18:
	s_or_b64 exec, exec, s[10:11]
                                        ; implicit-def: $vgpr13
.LBB12_19:
	s_andn2_saveexec_b64 s[14:15], s[8:9]
	s_cbranch_execz .LBB12_29
; %bb.20:
	v_add_f32_e32 v2, 0xbf490fdb, v13
	v_and_b32_e32 v3, 0x7fffffff, v2
	s_brev_b32 s6, 18
	v_cmp_nlt_f32_e64 s[16:17], |v2|, s6
	v_lshrrev_b32_e32 v15, 23, v3
                                        ; implicit-def: $vgpr11
                                        ; implicit-def: $vgpr14
	s_and_saveexec_b64 s[6:7], s[16:17]
	s_xor_b64 s[18:19], exec, s[6:7]
	s_cbranch_execz .LBB12_22
; %bb.21:
	v_and_b32_e32 v9, 0x7fffff, v3
	v_or_b32_e32 v14, 0x800000, v9
	s_mov_b32 s6, 0xfe5163ab
	v_mad_u64_u32 v[9:10], s[6:7], v14, s6, 0
	v_mov_b32_e32 v11, 0
	s_mov_b32 s6, 0x3c439041
	v_mad_u64_u32 v[16:17], s[6:7], v14, s6, v[10:11]
	s_mov_b32 s6, 0xdb629599
	v_add_u32_e32 v21, 0xffffff88, v15
	v_mov_b32_e32 v10, v17
	v_mad_u64_u32 v[17:18], s[6:7], v14, s6, v[10:11]
	s_mov_b32 s6, 0xf534ddc0
	v_not_b32_e32 v22, 63
	v_mov_b32_e32 v10, v18
	v_mad_u64_u32 v[18:19], s[6:7], v14, s6, v[10:11]
	s_mov_b32 s6, 0xfc2757d1
	v_cmp_lt_u32_e32 vcc, 63, v21
	v_mov_b32_e32 v10, v19
	v_mad_u64_u32 v[19:20], s[6:7], v14, s6, v[10:11]
	v_cndmask_b32_e32 v10, 0, v22, vcc
	v_add_u32_e32 v22, v10, v21
	v_mov_b32_e32 v10, v20
	s_mov_b32 s6, 0x4e441529
	v_mad_u64_u32 v[20:21], s[6:7], v14, s6, v[10:11]
	v_not_b32_e32 v23, 31
	v_cmp_lt_u32_e64 s[6:7], 31, v22
	v_cndmask_b32_e64 v10, 0, v23, s[6:7]
	v_add_u32_e32 v22, v10, v22
	v_mov_b32_e32 v10, v21
	s_mov_b32 s8, 0xa2f9836e
	v_mad_u64_u32 v[10:11], s[8:9], v14, s8, v[10:11]
	v_cmp_lt_u32_e64 s[8:9], 31, v22
	v_cndmask_b32_e64 v14, 0, v23, s[8:9]
	v_cndmask_b32_e32 v21, v20, v18, vcc
	v_cndmask_b32_e32 v10, v10, v19, vcc
	;; [unrolled: 1-line block ×3, first 2 shown]
	v_add_u32_e32 v14, v14, v22
	v_cndmask_b32_e64 v22, v10, v21, s[6:7]
	v_cndmask_b32_e64 v10, v11, v10, s[6:7]
	v_cndmask_b32_e32 v11, v19, v17, vcc
	v_cndmask_b32_e64 v19, v21, v11, s[6:7]
	v_sub_u32_e32 v21, 32, v14
	v_cmp_eq_u32_e64 s[10:11], 0, v14
	v_cndmask_b32_e32 v14, v18, v16, vcc
	v_cndmask_b32_e64 v10, v10, v22, s[8:9]
	v_cndmask_b32_e64 v20, v22, v19, s[8:9]
	;; [unrolled: 1-line block ×3, first 2 shown]
	v_alignbit_b32 v22, v10, v20, v21
	v_cndmask_b32_e64 v16, v19, v11, s[8:9]
	v_cndmask_b32_e64 v10, v22, v10, s[10:11]
	v_alignbit_b32 v18, v20, v16, v21
	v_cndmask_b32_e32 v9, v17, v9, vcc
	v_cndmask_b32_e64 v18, v18, v20, s[10:11]
	v_bfe_u32 v22, v10, 29, 1
	v_cndmask_b32_e64 v9, v14, v9, s[6:7]
	v_alignbit_b32 v19, v10, v18, 30
	v_sub_u32_e32 v23, 0, v22
	v_cndmask_b32_e64 v9, v11, v9, s[8:9]
	v_xor_b32_e32 v19, v19, v23
	v_alignbit_b32 v11, v16, v9, v21
	v_cndmask_b32_e64 v11, v11, v16, s[10:11]
	v_ffbh_u32_e32 v16, v19
	v_alignbit_b32 v14, v18, v11, 30
	v_min_u32_e32 v16, 32, v16
	v_alignbit_b32 v9, v11, v9, 30
	v_xor_b32_e32 v14, v14, v23
	v_sub_u32_e32 v17, 31, v16
	v_xor_b32_e32 v9, v9, v23
	v_alignbit_b32 v18, v19, v14, v17
	v_alignbit_b32 v9, v14, v9, v17
	;; [unrolled: 1-line block ×3, first 2 shown]
	v_ffbh_u32_e32 v14, v11
	v_min_u32_e32 v14, 32, v14
	v_lshrrev_b32_e32 v20, 29, v10
	v_not_b32_e32 v17, v14
	v_alignbit_b32 v9, v11, v9, v17
	v_lshlrev_b32_e32 v11, 31, v20
	v_or_b32_e32 v17, 0x33000000, v11
	v_add_lshl_u32 v14, v14, v16, 23
	v_lshrrev_b32_e32 v9, 9, v9
	v_sub_u32_e32 v14, v17, v14
	v_or_b32_e32 v11, 0.5, v11
	v_lshlrev_b32_e32 v16, 23, v16
	v_or_b32_e32 v9, v14, v9
	v_lshrrev_b32_e32 v14, 9, v18
	v_sub_u32_e32 v11, v11, v16
	v_or_b32_e32 v11, v14, v11
	s_mov_b32 s6, 0x3fc90fda
	v_mul_f32_e32 v14, 0x3fc90fda, v11
	v_fma_f32 v16, v11, s6, -v14
	v_fmac_f32_e32 v16, 0x33a22168, v11
	v_fmac_f32_e32 v16, 0x3fc90fda, v9
	v_lshrrev_b32_e32 v9, 30, v10
	v_add_f32_e32 v14, v14, v16
	v_add_u32_e32 v11, v22, v9
	s_andn2_saveexec_b64 s[6:7], s[18:19]
	s_cbranch_execz .LBB12_24
	s_branch .LBB12_23
.LBB12_22:
	s_andn2_saveexec_b64 s[6:7], s[18:19]
	s_cbranch_execz .LBB12_24
.LBB12_23:
	s_mov_b32 s8, 0x3f22f983
	v_mul_f32_e64 v9, |v2|, s8
	v_rndne_f32_e32 v9, v9
	s_mov_b32 s8, 0xbfc90fda
	v_cvt_i32_f32_e32 v11, v9
	v_fma_f32 v14, v9, s8, |v2|
	v_fmac_f32_e32 v14, 0xb3a22168, v9
	v_fmac_f32_e32 v14, 0xa7c234c4, v9
.LBB12_24:
	s_or_b64 exec, exec, s[6:7]
                                        ; implicit-def: $vgpr9
                                        ; implicit-def: $vgpr10
	s_and_saveexec_b64 s[6:7], s[16:17]
	s_xor_b64 s[16:17], exec, s[6:7]
	s_cbranch_execz .LBB12_26
; %bb.25:
	v_and_b32_e32 v9, 0x7fffff, v3
	v_or_b32_e32 v23, 0x800000, v9
	s_mov_b32 s6, 0xfe5163ab
	v_mad_u64_u32 v[9:10], s[6:7], v23, s6, 0
	v_mov_b32_e32 v17, 0
	s_mov_b32 s6, 0x3c439041
	v_mov_b32_e32 v16, v10
	v_mad_u64_u32 v[18:19], s[6:7], v23, s6, v[16:17]
	s_mov_b32 s6, 0xdb629599
	v_add_u32_e32 v10, 0xffffff88, v15
	v_mov_b32_e32 v16, v19
	v_mad_u64_u32 v[19:20], s[6:7], v23, s6, v[16:17]
	s_mov_b32 s6, 0xf534ddc0
	v_not_b32_e32 v22, 63
	v_mov_b32_e32 v16, v20
	v_mad_u64_u32 v[20:21], s[6:7], v23, s6, v[16:17]
	s_mov_b32 s6, 0xfc2757d1
	v_cmp_lt_u32_e32 vcc, 63, v10
	v_mov_b32_e32 v16, v21
	v_mad_u64_u32 v[15:16], s[6:7], v23, s6, v[16:17]
	v_cndmask_b32_e32 v21, 0, v22, vcc
	s_mov_b32 s6, 0x4e441529
	v_add_u32_e32 v10, v21, v10
	v_mad_u64_u32 v[21:22], s[6:7], v23, s6, v[16:17]
	v_not_b32_e32 v24, 31
	v_cmp_lt_u32_e64 s[6:7], 31, v10
	v_cndmask_b32_e64 v16, 0, v24, s[6:7]
	v_add_u32_e32 v10, v16, v10
	v_mov_b32_e32 v16, v22
	s_mov_b32 s8, 0xa2f9836e
	v_mad_u64_u32 v[16:17], s[8:9], v23, s8, v[16:17]
	v_cmp_lt_u32_e64 s[8:9], 31, v10
	v_cndmask_b32_e64 v22, 0, v24, s[8:9]
	v_add_u32_e32 v10, v22, v10
	v_cndmask_b32_e32 v22, v21, v20, vcc
	v_cndmask_b32_e32 v16, v16, v15, vcc
	;; [unrolled: 1-line block ×4, first 2 shown]
	v_cndmask_b32_e64 v23, v16, v22, s[6:7]
	v_cndmask_b32_e64 v16, v17, v16, s[6:7]
	;; [unrolled: 1-line block ×3, first 2 shown]
	v_sub_u32_e32 v22, 32, v10
	v_cmp_eq_u32_e64 s[10:11], 0, v10
	v_cndmask_b32_e32 v10, v20, v18, vcc
	v_cndmask_b32_e64 v16, v16, v23, s[8:9]
	v_cndmask_b32_e64 v21, v23, v17, s[8:9]
	;; [unrolled: 1-line block ×3, first 2 shown]
	v_alignbit_b32 v23, v16, v21, v22
	v_cndmask_b32_e64 v17, v17, v15, s[8:9]
	v_cndmask_b32_e64 v16, v23, v16, s[10:11]
	v_alignbit_b32 v18, v21, v17, v22
	v_cndmask_b32_e32 v9, v19, v9, vcc
	v_cndmask_b32_e64 v18, v18, v21, s[10:11]
	v_bfe_u32 v23, v16, 29, 1
	v_cndmask_b32_e64 v9, v10, v9, s[6:7]
	v_alignbit_b32 v20, v16, v18, 30
	v_sub_u32_e32 v24, 0, v23
	v_cndmask_b32_e64 v9, v15, v9, s[8:9]
	v_xor_b32_e32 v20, v20, v24
	v_alignbit_b32 v10, v17, v9, v22
	v_cndmask_b32_e64 v10, v10, v17, s[10:11]
	v_ffbh_u32_e32 v17, v20
	v_alignbit_b32 v15, v18, v10, 30
	v_min_u32_e32 v17, 32, v17
	v_alignbit_b32 v9, v10, v9, 30
	v_xor_b32_e32 v15, v15, v24
	v_sub_u32_e32 v18, 31, v17
	v_xor_b32_e32 v9, v9, v24
	v_alignbit_b32 v19, v20, v15, v18
	v_alignbit_b32 v9, v15, v9, v18
	;; [unrolled: 1-line block ×3, first 2 shown]
	v_ffbh_u32_e32 v15, v10
	v_min_u32_e32 v15, 32, v15
	v_lshrrev_b32_e32 v21, 29, v16
	v_not_b32_e32 v18, v15
	v_alignbit_b32 v9, v10, v9, v18
	v_lshlrev_b32_e32 v10, 31, v21
	v_or_b32_e32 v18, 0x33000000, v10
	v_add_lshl_u32 v15, v15, v17, 23
	v_lshrrev_b32_e32 v9, 9, v9
	v_sub_u32_e32 v15, v18, v15
	v_or_b32_e32 v10, 0.5, v10
	v_lshlrev_b32_e32 v17, 23, v17
	v_or_b32_e32 v9, v15, v9
	v_lshrrev_b32_e32 v15, 9, v19
	v_sub_u32_e32 v10, v10, v17
	v_or_b32_e32 v10, v15, v10
	s_mov_b32 s6, 0x3fc90fda
	v_mul_f32_e32 v15, 0x3fc90fda, v10
	v_fma_f32 v17, v10, s6, -v15
	v_fmac_f32_e32 v17, 0x33a22168, v10
	v_fmac_f32_e32 v17, 0x3fc90fda, v9
	v_lshrrev_b32_e32 v9, 30, v16
	v_add_f32_e32 v10, v15, v17
	v_add_u32_e32 v9, v23, v9
	s_andn2_saveexec_b64 s[6:7], s[16:17]
	s_cbranch_execnz .LBB12_27
	s_branch .LBB12_28
.LBB12_26:
	s_andn2_saveexec_b64 s[6:7], s[16:17]
	s_cbranch_execz .LBB12_28
.LBB12_27:
	s_mov_b32 s8, 0x3f22f983
	v_mul_f32_e64 v9, |v2|, s8
	v_rndne_f32_e32 v15, v9
	s_mov_b32 s8, 0xbfc90fda
	v_cvt_i32_f32_e32 v9, v15
	v_fma_f32 v10, v15, s8, |v2|
	v_fmac_f32_e32 v10, 0xb3a22168, v15
	v_fmac_f32_e32 v10, 0xa7c234c4, v15
.LBB12_28:
	s_or_b64 exec, exec, s[6:7]
	v_mul_f32_e32 v15, v13, v13
	s_mov_b32 s8, 0x41c80000
	v_div_scale_f32 v16, s[6:7], v15, v15, s8
	v_mov_b32_e32 v24, 0xbf000004
	v_xor_b32_e32 v3, v3, v2
	s_mov_b32 s10, 0x40a00000
	v_rcp_f32_e32 v17, v16
	v_fma_f32 v18, -v16, v17, 1.0
	v_fmac_f32_e32 v17, v18, v17
	v_div_scale_f32 v18, vcc, s8, v15, s8
	v_mul_f32_e32 v19, v18, v17
	v_fma_f32 v20, -v16, v19, v18
	v_fmac_f32_e32 v19, v20, v17
	v_fma_f32 v16, -v16, v19, v18
	v_div_fmas_f32 v16, v16, v17, v19
	v_mov_b32_e32 v17, 0x3da9a586
	v_mov_b32_e32 v18, 0x3daf5e2d
	;; [unrolled: 1-line block ×4, first 2 shown]
	v_div_fixup_f32 v15, v16, v15, s8
	v_mov_b32_e32 v16, 0x3a50e985
	v_fmac_f32_e32 v16, 0, v15
	v_fmac_f32_e32 v17, v15, v16
	v_mov_b32_e32 v16, 0x3f9ea90a
	v_fmac_f32_e32 v16, v15, v17
	v_mov_b32_e32 v17, 0x40ae4fdf
	;; [unrolled: 2-line block ×5, first 2 shown]
	v_fmac_f32_e32 v16, 0, v15
	v_fmac_f32_e32 v18, v15, v16
	v_mov_b32_e32 v16, 0x3fa07396
	v_fmac_f32_e32 v16, v15, v18
	v_mov_b32_e32 v18, 0x40af123f
	;; [unrolled: 2-line block ×4, first 2 shown]
	v_fmac_f32_e32 v18, v15, v16
	v_fma_f32 v16, v15, v18, 1.0
	v_mov_b32_e32 v18, 0xbc3a3a12
	v_fmac_f32_e32 v18, 0, v15
	v_fmac_f32_e32 v19, v15, v18
	v_mov_b32_e32 v18, 0xc19c6e80
	v_fmac_f32_e32 v18, v15, v19
	v_mov_b32_e32 v19, 0xc2ba697b
	;; [unrolled: 2-line block ×7, first 2 shown]
	v_fmac_f32_e32 v18, 0, v15
	v_fmac_f32_e32 v20, v15, v18
	v_mov_b32_e32 v18, 0x4572a66e
	v_fmac_f32_e32 v18, v15, v20
	v_mov_b32_e32 v20, 0x45e243be
	;; [unrolled: 2-line block ×5, first 2 shown]
	v_fmac_f32_e32 v18, v15, v20
	v_fma_f32 v15, v15, v17, 1.0
	v_div_scale_f32 v17, s[6:7], v16, v16, v15
	s_movk_i32 s6, 0x1f8
	v_cmp_class_f32_e64 s[6:7], v2, s6
	v_mov_b32_e32 v2, 0x7fc00000
	v_rcp_f32_e32 v20, v17
	v_fma_f32 v21, -v17, v20, 1.0
	v_fmac_f32_e32 v20, v21, v20
	v_div_scale_f32 v21, vcc, v15, v16, v15
	v_mul_f32_e32 v22, v21, v20
	v_fma_f32 v23, -v17, v22, v21
	v_fmac_f32_e32 v22, v23, v20
	v_fma_f32 v17, -v17, v22, v21
	v_div_fmas_f32 v17, v17, v20, v22
	v_mov_b32_e32 v22, 0xbab64f3b
	v_mov_b32_e32 v20, 0x3c0881c4
	;; [unrolled: 1-line block ×4, first 2 shown]
	v_div_fixup_f32 v15, v17, v16, v15
	v_mul_f32_e32 v16, v14, v14
	v_fmac_f32_e32 v22, 0x37d75334, v16
	v_fmac_f32_e32 v20, 0xb94c1982, v16
	v_fma_f32 v22, v16, v22, v23
	v_fma_f32 v20, v16, v20, v21
	;; [unrolled: 1-line block ×3, first 2 shown]
	v_mul_f32_e32 v20, v16, v20
	v_fma_f32 v16, v16, v22, 1.0
	v_and_b32_e32 v22, 1, v11
	v_lshlrev_b32_e32 v11, 30, v11
	v_and_b32_e32 v11, 0x80000000, v11
	v_xor_b32_e32 v3, v3, v11
	v_div_scale_f32 v11, s[8:9], v13, v13, s10
	v_fmac_f32_e32 v14, v14, v20
	v_cmp_eq_u32_e32 vcc, 0, v22
	v_cndmask_b32_e32 v14, v16, v14, vcc
	v_xor_b32_e32 v3, v3, v14
	v_mov_b32_e32 v17, 0x3c0881c4
	v_mov_b32_e32 v20, 0xbab64f3b
	v_cndmask_b32_e64 v3, v2, v3, s[6:7]
	v_rcp_f32_e32 v14, v11
	v_fma_f32 v16, -v11, v14, 1.0
	v_fmac_f32_e32 v14, v16, v14
	v_div_scale_f32 v16, vcc, s10, v13, s10
	v_mul_f32_e32 v22, v16, v14
	v_fma_f32 v25, -v11, v22, v16
	v_fmac_f32_e32 v22, v25, v14
	v_fma_f32 v11, -v11, v22, v16
	v_div_fmas_f32 v11, v11, v14, v22
	v_div_scale_f32 v14, s[8:9], v18, v18, v19
	v_div_fixup_f32 v11, v11, v13, s10
	v_rcp_f32_e32 v16, v14
	v_fma_f32 v22, -v14, v16, 1.0
	v_fmac_f32_e32 v16, v22, v16
	v_div_scale_f32 v22, vcc, v19, v18, v19
	v_mul_f32_e32 v25, v22, v16
	v_fma_f32 v26, -v14, v25, v22
	v_fmac_f32_e32 v25, v26, v16
	v_fma_f32 v14, -v14, v25, v22
	v_div_fmas_f32 v14, v14, v16, v25
	v_div_fixup_f32 v14, v14, v18, v19
	v_mul_f32_e32 v11, v11, v14
	v_mul_f32_e32 v14, v10, v10
	v_fmac_f32_e32 v17, 0xb94c1982, v14
	v_fmac_f32_e32 v21, v14, v17
	;; [unrolled: 1-line block ×3, first 2 shown]
	v_mul_f32_e32 v16, v14, v21
	v_fmac_f32_e32 v23, v14, v20
	v_fmac_f32_e32 v10, v10, v16
	;; [unrolled: 1-line block ×3, first 2 shown]
	v_and_b32_e32 v16, 1, v9
	v_fma_f32 v14, v14, v24, 1.0
	v_cmp_eq_u32_e32 vcc, 0, v16
	v_lshlrev_b32_e32 v9, 30, v9
	v_cndmask_b32_e64 v10, -v10, v14, vcc
	v_and_b32_e32 v9, 0x80000000, v9
	v_xor_b32_e32 v9, v9, v10
	v_cndmask_b32_e64 v2, v2, v9, s[6:7]
	v_mul_f32_e32 v2, v11, v2
	s_mov_b32 s6, 0xf800000
	v_fmac_f32_e32 v2, v15, v3
	v_cmp_gt_f32_e32 vcc, s6, v13
	v_mul_f32_e32 v3, 0x4f800000, v13
	v_cndmask_b32_e32 v3, v13, v3, vcc
	v_sqrt_f32_e32 v9, v3
	v_mul_f32_e32 v2, 0x3f4c422a, v2
	v_add_u32_e32 v10, -1, v9
	v_fma_f32 v11, -v10, v9, v3
	v_cmp_ge_f32_e64 s[6:7], 0, v11
	v_add_u32_e32 v11, 1, v9
	v_cndmask_b32_e64 v10, v9, v10, s[6:7]
	v_fma_f32 v9, -v11, v9, v3
	v_cmp_lt_f32_e64 s[6:7], 0, v9
	v_cndmask_b32_e64 v9, v10, v11, s[6:7]
	v_mul_f32_e32 v10, 0x37800000, v9
	v_cndmask_b32_e32 v9, v9, v10, vcc
	v_mov_b32_e32 v10, 0x260
	v_cmp_class_f32_e32 vcc, v3, v10
	v_cndmask_b32_e32 v3, v9, v3, vcc
	v_div_scale_f32 v9, s[6:7], v3, v3, v2
	v_rcp_f32_e32 v10, v9
	v_fma_f32 v11, -v9, v10, 1.0
	v_fmac_f32_e32 v10, v11, v10
	v_div_scale_f32 v11, vcc, v2, v3, v2
	v_mul_f32_e32 v13, v11, v10
	v_fma_f32 v14, -v9, v13, v11
	v_fmac_f32_e32 v13, v14, v10
	v_fma_f32 v9, -v9, v13, v11
	v_div_fmas_f32 v9, v9, v10, v13
	v_div_fixup_f32 v2, v9, v3, v2
.LBB12_29:
	s_or_b64 exec, exec, s[14:15]
	v_mov_b32_e32 v11, 0
	v_mov_b32_e32 v10, v11
	;; [unrolled: 1-line block ×3, first 2 shown]
.LBB12_30:
	s_or_b64 exec, exec, s[12:13]
	v_add_u32_e32 v3, 0x100, v7
	v_cmp_lt_i32_e32 vcc, v3, v4
	s_and_saveexec_b64 s[12:13], vcc
	s_cbranch_execz .LBB12_52
; %bb.31:
	s_mov_b32 s6, 0x40a00000
	s_waitcnt vmcnt(0) lgkmcnt(0)
	v_cmp_ge_f32_e32 vcc, s6, v12
	s_and_saveexec_b64 s[6:7], vcc
	s_xor_b64 s[8:9], exec, s[6:7]
                                        ; implicit-def: $vgpr11
	s_cbranch_execz .LBB12_41
; %bb.32:
	v_cmp_neq_f32_e32 vcc, 0, v12
	v_mov_b32_e32 v11, 0xff800000
	s_and_saveexec_b64 s[10:11], vcc
	s_cbranch_execz .LBB12_40
; %bb.33:
	v_cmp_ngt_f32_e32 vcc, 0, v12
	v_mov_b32_e32 v11, 0x7fc00000
	s_and_saveexec_b64 s[14:15], vcc
	s_cbranch_execz .LBB12_39
; %bb.34:
	v_mul_f32_e32 v11, v12, v12
	s_mov_b32 s6, 0x3727c5ac
	v_mul_f32_e32 v14, 0, v11
	v_cmp_ngt_f32_e32 vcc, s6, v12
                                        ; implicit-def: $vgpr13
	s_and_saveexec_b64 s[6:7], vcc
	s_xor_b64 s[6:7], exec, s[6:7]
	s_cbranch_execz .LBB12_36
; %bb.35:
	v_add_f32_e32 v13, 0xcf8ee29d, v14
	v_mov_b32_e32 v15, 0x53e3ba8e
	v_fmac_f32_e32 v15, v11, v13
	v_mov_b32_e32 v13, 0xd762b0a7
	v_fmac_f32_e32 v13, v11, v15
	v_add_f32_e32 v15, 0x43f9c815, v14
	v_mov_b32_e32 v16, 0x4829b65a
	v_fmac_f32_e32 v16, v11, v15
	v_mov_b32_e32 v15, 0x4c38c9a1
	v_fmac_f32_e32 v15, v11, v16
	;; [unrolled: 2-line block ×8, first 2 shown]
	v_add_f32_e32 v13, 0xc0b90fdc, v11
	v_add_f32_e32 v17, 0xc1f3c525, v11
	v_mul_f32_e32 v13, v13, v17
	v_mul_f32_e32 v13, v13, v15
	v_div_scale_f32 v15, s[16:17], v16, v16, v13
	v_div_scale_f32 v17, vcc, v13, v16, v13
	v_rcp_f32_e32 v18, v15
	v_fma_f32 v19, -v15, v18, 1.0
	v_fmac_f32_e32 v18, v19, v18
	v_mul_f32_e32 v19, v17, v18
	v_fma_f32 v20, -v15, v19, v17
	v_fmac_f32_e32 v19, v20, v18
	v_fma_f32 v15, -v15, v19, v17
	v_div_fmas_f32 v15, v15, v18, v19
	v_div_fixup_f32 v13, v15, v16, v13
.LBB12_36:
	s_andn2_saveexec_b64 s[6:7], s[6:7]
; %bb.37:
	s_mov_b32 s16, 0xbe800000
	v_fma_f32 v13, v11, s16, 1.0
; %bb.38:
	s_or_b64 exec, exec, s[6:7]
	v_add_f32_e32 v15, 0x4673a1bf, v14
	v_mov_b32_e32 v16, 0xcb5fc0fa
	v_fmac_f32_e32 v16, v11, v15
	v_mov_b32_e32 v15, 0x4fa1fbc8
	v_fmac_f32_e32 v15, v11, v16
	;; [unrolled: 2-line block ×6, first 2 shown]
	v_add_f32_e32 v14, 0x44822913, v14
	v_mov_b32_e32 v16, 0x4918dbb5
	v_fmac_f32_e32 v16, v11, v14
	v_mov_b32_e32 v14, 0x4d803b1b
	v_fmac_f32_e32 v14, v11, v16
	;; [unrolled: 2-line block ×7, first 2 shown]
	v_div_scale_f32 v11, s[6:7], v14, v14, v16
	v_div_scale_f32 v15, vcc, v16, v14, v16
	s_mov_b32 s6, 0x800000
	v_rcp_f32_e32 v17, v11
	v_fma_f32 v18, -v11, v17, 1.0
	v_fmac_f32_e32 v17, v18, v17
	v_mul_f32_e32 v18, v15, v17
	v_fma_f32 v19, -v11, v18, v15
	v_fmac_f32_e32 v18, v19, v17
	v_fma_f32 v11, -v11, v18, v15
	v_div_fmas_f32 v11, v11, v17, v18
	v_cmp_gt_f32_e32 vcc, s6, v12
	v_cndmask_b32_e64 v15, 0, 32, vcc
	v_ldexp_f32 v12, v12, v15
	v_log_f32_e32 v12, v12
	s_mov_b32 s6, 0x3f317217
	v_mul_f32_e32 v15, 0x3f317217, v12
	v_fma_f32 v15, v12, s6, -v15
	v_fmac_f32_e32 v15, 0x3377d1cf, v12
	s_mov_b32 s6, 0x7f800000
	v_fmac_f32_e32 v15, 0x3f317217, v12
	v_cmp_lt_f32_e64 s[6:7], |v12|, s6
	v_cndmask_b32_e64 v12, v12, v15, s[6:7]
	v_div_fixup_f32 v11, v11, v14, v16
	v_mov_b32_e32 v14, 0x41b17218
	v_cndmask_b32_e32 v14, 0, v14, vcc
	v_sub_f32_e32 v12, v12, v14
	v_mul_f32_e32 v12, 0x3f22f983, v12
	v_fmac_f32_e32 v11, v12, v13
.LBB12_39:
	s_or_b64 exec, exec, s[14:15]
.LBB12_40:
	s_or_b64 exec, exec, s[10:11]
                                        ; implicit-def: $vgpr12
.LBB12_41:
	s_andn2_saveexec_b64 s[14:15], s[8:9]
	s_cbranch_execz .LBB12_51
; %bb.42:
	v_add_f32_e32 v11, 0xbf490fdb, v12
	v_and_b32_e32 v13, 0x7fffffff, v11
	s_brev_b32 s6, 18
	v_cmp_nlt_f32_e64 s[16:17], |v11|, s6
	v_lshrrev_b32_e32 v18, 23, v13
                                        ; implicit-def: $vgpr16
                                        ; implicit-def: $vgpr17
	s_and_saveexec_b64 s[6:7], s[16:17]
	s_xor_b64 s[18:19], exec, s[6:7]
	s_cbranch_execz .LBB12_44
; %bb.43:
	v_and_b32_e32 v14, 0x7fffff, v13
	v_or_b32_e32 v17, 0x800000, v14
	s_mov_b32 s6, 0xfe5163ab
	v_mad_u64_u32 v[14:15], s[6:7], v17, s6, 0
	v_mov_b32_e32 v16, 0
	s_mov_b32 s6, 0x3c439041
	v_mad_u64_u32 v[19:20], s[6:7], v17, s6, v[15:16]
	s_mov_b32 s6, 0xdb629599
	v_add_u32_e32 v24, 0xffffff88, v18
	v_mov_b32_e32 v15, v20
	v_mad_u64_u32 v[20:21], s[6:7], v17, s6, v[15:16]
	s_mov_b32 s6, 0xf534ddc0
	v_not_b32_e32 v25, 63
	v_mov_b32_e32 v15, v21
	v_mad_u64_u32 v[21:22], s[6:7], v17, s6, v[15:16]
	s_mov_b32 s6, 0xfc2757d1
	v_cmp_lt_u32_e32 vcc, 63, v24
	v_mov_b32_e32 v15, v22
	v_mad_u64_u32 v[22:23], s[6:7], v17, s6, v[15:16]
	v_cndmask_b32_e32 v15, 0, v25, vcc
	v_add_u32_e32 v25, v15, v24
	v_mov_b32_e32 v15, v23
	s_mov_b32 s6, 0x4e441529
	v_mad_u64_u32 v[23:24], s[6:7], v17, s6, v[15:16]
	v_not_b32_e32 v26, 31
	v_cmp_lt_u32_e64 s[6:7], 31, v25
	v_cndmask_b32_e64 v15, 0, v26, s[6:7]
	v_add_u32_e32 v25, v15, v25
	v_mov_b32_e32 v15, v24
	s_mov_b32 s8, 0xa2f9836e
	v_mad_u64_u32 v[15:16], s[8:9], v17, s8, v[15:16]
	v_cmp_lt_u32_e64 s[8:9], 31, v25
	v_cndmask_b32_e64 v17, 0, v26, s[8:9]
	v_cndmask_b32_e32 v24, v23, v21, vcc
	v_cndmask_b32_e32 v15, v15, v22, vcc
	;; [unrolled: 1-line block ×3, first 2 shown]
	v_add_u32_e32 v17, v17, v25
	v_cndmask_b32_e64 v25, v15, v24, s[6:7]
	v_cndmask_b32_e64 v15, v16, v15, s[6:7]
	v_cndmask_b32_e32 v16, v22, v20, vcc
	v_cndmask_b32_e64 v22, v24, v16, s[6:7]
	v_sub_u32_e32 v24, 32, v17
	v_cmp_eq_u32_e64 s[10:11], 0, v17
	v_cndmask_b32_e32 v17, v21, v19, vcc
	v_cndmask_b32_e64 v15, v15, v25, s[8:9]
	v_cndmask_b32_e64 v23, v25, v22, s[8:9]
	;; [unrolled: 1-line block ×3, first 2 shown]
	v_alignbit_b32 v25, v15, v23, v24
	v_cndmask_b32_e64 v19, v22, v16, s[8:9]
	v_cndmask_b32_e64 v15, v25, v15, s[10:11]
	v_alignbit_b32 v21, v23, v19, v24
	v_cndmask_b32_e32 v14, v20, v14, vcc
	v_cndmask_b32_e64 v21, v21, v23, s[10:11]
	v_bfe_u32 v25, v15, 29, 1
	v_cndmask_b32_e64 v14, v17, v14, s[6:7]
	v_alignbit_b32 v22, v15, v21, 30
	v_sub_u32_e32 v26, 0, v25
	v_cndmask_b32_e64 v14, v16, v14, s[8:9]
	v_xor_b32_e32 v22, v22, v26
	v_alignbit_b32 v16, v19, v14, v24
	v_cndmask_b32_e64 v16, v16, v19, s[10:11]
	v_ffbh_u32_e32 v19, v22
	v_alignbit_b32 v17, v21, v16, 30
	v_min_u32_e32 v19, 32, v19
	v_alignbit_b32 v14, v16, v14, 30
	v_xor_b32_e32 v17, v17, v26
	v_sub_u32_e32 v20, 31, v19
	v_xor_b32_e32 v14, v14, v26
	v_alignbit_b32 v21, v22, v17, v20
	v_alignbit_b32 v14, v17, v14, v20
	v_alignbit_b32 v16, v21, v14, 9
	v_ffbh_u32_e32 v17, v16
	v_min_u32_e32 v17, 32, v17
	v_lshrrev_b32_e32 v23, 29, v15
	v_not_b32_e32 v20, v17
	v_alignbit_b32 v14, v16, v14, v20
	v_lshlrev_b32_e32 v16, 31, v23
	v_or_b32_e32 v20, 0x33000000, v16
	v_add_lshl_u32 v17, v17, v19, 23
	v_lshrrev_b32_e32 v14, 9, v14
	v_sub_u32_e32 v17, v20, v17
	v_or_b32_e32 v16, 0.5, v16
	v_lshlrev_b32_e32 v19, 23, v19
	v_or_b32_e32 v14, v17, v14
	v_lshrrev_b32_e32 v17, 9, v21
	v_sub_u32_e32 v16, v16, v19
	v_or_b32_e32 v16, v17, v16
	s_mov_b32 s6, 0x3fc90fda
	v_mul_f32_e32 v17, 0x3fc90fda, v16
	v_fma_f32 v19, v16, s6, -v17
	v_fmac_f32_e32 v19, 0x33a22168, v16
	v_fmac_f32_e32 v19, 0x3fc90fda, v14
	v_lshrrev_b32_e32 v14, 30, v15
	v_add_f32_e32 v17, v17, v19
	v_add_u32_e32 v16, v25, v14
	s_andn2_saveexec_b64 s[6:7], s[18:19]
	s_cbranch_execz .LBB12_46
	s_branch .LBB12_45
.LBB12_44:
	s_andn2_saveexec_b64 s[6:7], s[18:19]
	s_cbranch_execz .LBB12_46
.LBB12_45:
	s_mov_b32 s8, 0x3f22f983
	v_mul_f32_e64 v14, |v11|, s8
	v_rndne_f32_e32 v14, v14
	s_mov_b32 s8, 0xbfc90fda
	v_cvt_i32_f32_e32 v16, v14
	v_fma_f32 v17, v14, s8, |v11|
	v_fmac_f32_e32 v17, 0xb3a22168, v14
	v_fmac_f32_e32 v17, 0xa7c234c4, v14
.LBB12_46:
	s_or_b64 exec, exec, s[6:7]
                                        ; implicit-def: $vgpr14
                                        ; implicit-def: $vgpr15
	s_and_saveexec_b64 s[6:7], s[16:17]
	s_xor_b64 s[16:17], exec, s[6:7]
	s_cbranch_execz .LBB12_48
; %bb.47:
	v_and_b32_e32 v14, 0x7fffff, v13
	v_or_b32_e32 v26, 0x800000, v14
	s_mov_b32 s6, 0xfe5163ab
	v_mad_u64_u32 v[14:15], s[6:7], v26, s6, 0
	v_mov_b32_e32 v20, 0
	s_mov_b32 s6, 0x3c439041
	v_mov_b32_e32 v19, v15
	v_mad_u64_u32 v[21:22], s[6:7], v26, s6, v[19:20]
	s_mov_b32 s6, 0xdb629599
	v_add_u32_e32 v15, 0xffffff88, v18
	v_mov_b32_e32 v19, v22
	v_mad_u64_u32 v[22:23], s[6:7], v26, s6, v[19:20]
	s_mov_b32 s6, 0xf534ddc0
	v_not_b32_e32 v25, 63
	v_mov_b32_e32 v19, v23
	v_mad_u64_u32 v[23:24], s[6:7], v26, s6, v[19:20]
	s_mov_b32 s6, 0xfc2757d1
	v_cmp_lt_u32_e32 vcc, 63, v15
	v_mov_b32_e32 v19, v24
	v_mad_u64_u32 v[18:19], s[6:7], v26, s6, v[19:20]
	v_cndmask_b32_e32 v24, 0, v25, vcc
	s_mov_b32 s6, 0x4e441529
	v_add_u32_e32 v15, v24, v15
	v_mad_u64_u32 v[24:25], s[6:7], v26, s6, v[19:20]
	v_not_b32_e32 v27, 31
	v_cmp_lt_u32_e64 s[6:7], 31, v15
	v_cndmask_b32_e64 v19, 0, v27, s[6:7]
	v_add_u32_e32 v15, v19, v15
	v_mov_b32_e32 v19, v25
	s_mov_b32 s8, 0xa2f9836e
	v_mad_u64_u32 v[19:20], s[8:9], v26, s8, v[19:20]
	v_cmp_lt_u32_e64 s[8:9], 31, v15
	v_cndmask_b32_e64 v25, 0, v27, s[8:9]
	v_add_u32_e32 v15, v25, v15
	v_cndmask_b32_e32 v25, v24, v23, vcc
	v_cndmask_b32_e32 v20, v20, v24, vcc
	;; [unrolled: 1-line block ×4, first 2 shown]
	v_cndmask_b32_e64 v24, v19, v25, s[6:7]
	v_cndmask_b32_e64 v19, v20, v19, s[6:7]
	;; [unrolled: 1-line block ×3, first 2 shown]
	v_sub_u32_e32 v25, 32, v15
	v_cmp_eq_u32_e64 s[10:11], 0, v15
	v_cndmask_b32_e32 v15, v23, v21, vcc
	v_cndmask_b32_e64 v19, v19, v24, s[8:9]
	v_cndmask_b32_e64 v24, v24, v20, s[8:9]
	;; [unrolled: 1-line block ×3, first 2 shown]
	v_alignbit_b32 v26, v19, v24, v25
	v_cndmask_b32_e64 v20, v20, v18, s[8:9]
	v_cndmask_b32_e64 v19, v26, v19, s[10:11]
	v_alignbit_b32 v21, v24, v20, v25
	v_cndmask_b32_e32 v14, v22, v14, vcc
	v_cndmask_b32_e64 v21, v21, v24, s[10:11]
	v_bfe_u32 v26, v19, 29, 1
	v_cndmask_b32_e64 v14, v15, v14, s[6:7]
	v_alignbit_b32 v23, v19, v21, 30
	v_sub_u32_e32 v27, 0, v26
	v_cndmask_b32_e64 v14, v18, v14, s[8:9]
	v_xor_b32_e32 v23, v23, v27
	v_alignbit_b32 v15, v20, v14, v25
	v_cndmask_b32_e64 v15, v15, v20, s[10:11]
	v_ffbh_u32_e32 v20, v23
	v_alignbit_b32 v18, v21, v15, 30
	v_min_u32_e32 v20, 32, v20
	v_alignbit_b32 v14, v15, v14, 30
	v_xor_b32_e32 v18, v18, v27
	v_sub_u32_e32 v21, 31, v20
	v_xor_b32_e32 v14, v14, v27
	v_alignbit_b32 v22, v23, v18, v21
	v_alignbit_b32 v14, v18, v14, v21
	;; [unrolled: 1-line block ×3, first 2 shown]
	v_ffbh_u32_e32 v18, v15
	v_min_u32_e32 v18, 32, v18
	v_lshrrev_b32_e32 v24, 29, v19
	v_not_b32_e32 v21, v18
	v_alignbit_b32 v14, v15, v14, v21
	v_lshlrev_b32_e32 v15, 31, v24
	v_or_b32_e32 v21, 0x33000000, v15
	v_add_lshl_u32 v18, v18, v20, 23
	v_lshrrev_b32_e32 v14, 9, v14
	v_sub_u32_e32 v18, v21, v18
	v_or_b32_e32 v15, 0.5, v15
	v_lshlrev_b32_e32 v20, 23, v20
	v_or_b32_e32 v14, v18, v14
	v_lshrrev_b32_e32 v18, 9, v22
	v_sub_u32_e32 v15, v15, v20
	v_or_b32_e32 v15, v18, v15
	s_mov_b32 s6, 0x3fc90fda
	v_mul_f32_e32 v18, 0x3fc90fda, v15
	v_fma_f32 v20, v15, s6, -v18
	v_fmac_f32_e32 v20, 0x33a22168, v15
	v_fmac_f32_e32 v20, 0x3fc90fda, v14
	v_lshrrev_b32_e32 v14, 30, v19
	v_add_f32_e32 v15, v18, v20
	v_add_u32_e32 v14, v26, v14
	s_andn2_saveexec_b64 s[6:7], s[16:17]
	s_cbranch_execnz .LBB12_49
	s_branch .LBB12_50
.LBB12_48:
	s_andn2_saveexec_b64 s[6:7], s[16:17]
	s_cbranch_execz .LBB12_50
.LBB12_49:
	s_mov_b32 s8, 0x3f22f983
	v_mul_f32_e64 v14, |v11|, s8
	v_rndne_f32_e32 v18, v14
	s_mov_b32 s8, 0xbfc90fda
	v_cvt_i32_f32_e32 v14, v18
	v_fma_f32 v15, v18, s8, |v11|
	v_fmac_f32_e32 v15, 0xb3a22168, v18
	v_fmac_f32_e32 v15, 0xa7c234c4, v18
.LBB12_50:
	s_or_b64 exec, exec, s[6:7]
	v_mul_f32_e32 v18, v12, v12
	s_mov_b32 s8, 0x41c80000
	v_div_scale_f32 v19, s[6:7], v18, v18, s8
	v_mov_b32_e32 v27, 0xbf000004
	v_xor_b32_e32 v13, v13, v11
	s_mov_b32 s10, 0x40a00000
	v_rcp_f32_e32 v20, v19
	v_fma_f32 v21, -v19, v20, 1.0
	v_fmac_f32_e32 v20, v21, v20
	v_div_scale_f32 v21, vcc, s8, v18, s8
	v_mul_f32_e32 v22, v21, v20
	v_fma_f32 v23, -v19, v22, v21
	v_fmac_f32_e32 v22, v23, v20
	v_fma_f32 v19, -v19, v22, v21
	v_div_fmas_f32 v19, v19, v20, v22
	v_mov_b32_e32 v20, 0x3da9a586
	v_mov_b32_e32 v21, 0x3daf5e2d
	;; [unrolled: 1-line block ×4, first 2 shown]
	v_div_fixup_f32 v18, v19, v18, s8
	v_mov_b32_e32 v19, 0x3a50e985
	v_fmac_f32_e32 v19, 0, v18
	v_fmac_f32_e32 v20, v18, v19
	v_mov_b32_e32 v19, 0x3f9ea90a
	v_fmac_f32_e32 v19, v18, v20
	v_mov_b32_e32 v20, 0x40ae4fdf
	;; [unrolled: 2-line block ×5, first 2 shown]
	v_fmac_f32_e32 v19, 0, v18
	v_fmac_f32_e32 v21, v18, v19
	v_mov_b32_e32 v19, 0x3fa07396
	v_fmac_f32_e32 v19, v18, v21
	v_mov_b32_e32 v21, 0x40af123f
	;; [unrolled: 2-line block ×4, first 2 shown]
	v_fmac_f32_e32 v21, v18, v19
	v_fma_f32 v19, v18, v21, 1.0
	v_mov_b32_e32 v21, 0xbc3a3a12
	v_fmac_f32_e32 v21, 0, v18
	v_fmac_f32_e32 v22, v18, v21
	v_mov_b32_e32 v21, 0xc19c6e80
	v_fmac_f32_e32 v21, v18, v22
	v_mov_b32_e32 v22, 0xc2ba697b
	;; [unrolled: 2-line block ×7, first 2 shown]
	v_fmac_f32_e32 v21, 0, v18
	v_fmac_f32_e32 v23, v18, v21
	v_mov_b32_e32 v21, 0x4572a66e
	v_fmac_f32_e32 v21, v18, v23
	v_mov_b32_e32 v23, 0x45e243be
	;; [unrolled: 2-line block ×5, first 2 shown]
	v_fmac_f32_e32 v21, v18, v23
	v_fma_f32 v18, v18, v20, 1.0
	v_div_scale_f32 v20, s[6:7], v19, v19, v18
	s_movk_i32 s6, 0x1f8
	v_cmp_class_f32_e64 s[6:7], v11, s6
	v_mov_b32_e32 v11, 0x7fc00000
	v_rcp_f32_e32 v23, v20
	v_fma_f32 v24, -v20, v23, 1.0
	v_fmac_f32_e32 v23, v24, v23
	v_div_scale_f32 v24, vcc, v18, v19, v18
	v_mul_f32_e32 v25, v24, v23
	v_fma_f32 v26, -v20, v25, v24
	v_fmac_f32_e32 v25, v26, v23
	v_fma_f32 v20, -v20, v25, v24
	v_div_fmas_f32 v20, v20, v23, v25
	v_mov_b32_e32 v25, 0xbab64f3b
	v_mov_b32_e32 v23, 0x3c0881c4
	;; [unrolled: 1-line block ×4, first 2 shown]
	v_div_fixup_f32 v18, v20, v19, v18
	v_mul_f32_e32 v19, v17, v17
	v_fmac_f32_e32 v25, 0x37d75334, v19
	v_fmac_f32_e32 v23, 0xb94c1982, v19
	v_fma_f32 v25, v19, v25, v26
	v_fma_f32 v23, v19, v23, v24
	v_fma_f32 v25, v19, v25, v27
	v_mul_f32_e32 v23, v19, v23
	v_fma_f32 v19, v19, v25, 1.0
	v_and_b32_e32 v25, 1, v16
	v_lshlrev_b32_e32 v16, 30, v16
	v_and_b32_e32 v16, 0x80000000, v16
	v_xor_b32_e32 v13, v13, v16
	v_div_scale_f32 v16, s[8:9], v12, v12, s10
	v_fmac_f32_e32 v17, v17, v23
	v_cmp_eq_u32_e32 vcc, 0, v25
	v_cndmask_b32_e32 v17, v19, v17, vcc
	v_xor_b32_e32 v13, v13, v17
	v_mov_b32_e32 v20, 0x3c0881c4
	v_mov_b32_e32 v23, 0xbab64f3b
	v_cndmask_b32_e64 v13, v11, v13, s[6:7]
	v_rcp_f32_e32 v17, v16
	v_fma_f32 v19, -v16, v17, 1.0
	v_fmac_f32_e32 v17, v19, v17
	v_div_scale_f32 v19, vcc, s10, v12, s10
	v_mul_f32_e32 v25, v19, v17
	v_fma_f32 v28, -v16, v25, v19
	v_fmac_f32_e32 v25, v28, v17
	v_fma_f32 v16, -v16, v25, v19
	v_div_fmas_f32 v16, v16, v17, v25
	v_div_scale_f32 v17, s[8:9], v21, v21, v22
	v_div_fixup_f32 v16, v16, v12, s10
	v_rcp_f32_e32 v19, v17
	v_fma_f32 v25, -v17, v19, 1.0
	v_fmac_f32_e32 v19, v25, v19
	v_div_scale_f32 v25, vcc, v22, v21, v22
	v_mul_f32_e32 v28, v25, v19
	v_fma_f32 v29, -v17, v28, v25
	v_fmac_f32_e32 v28, v29, v19
	v_fma_f32 v17, -v17, v28, v25
	v_div_fmas_f32 v17, v17, v19, v28
	v_div_fixup_f32 v17, v17, v21, v22
	v_mul_f32_e32 v16, v16, v17
	v_mul_f32_e32 v17, v15, v15
	v_fmac_f32_e32 v20, 0xb94c1982, v17
	v_fmac_f32_e32 v24, v17, v20
	;; [unrolled: 1-line block ×3, first 2 shown]
	v_mul_f32_e32 v19, v17, v24
	v_fmac_f32_e32 v26, v17, v23
	v_fmac_f32_e32 v15, v15, v19
	;; [unrolled: 1-line block ×3, first 2 shown]
	v_and_b32_e32 v19, 1, v14
	v_fma_f32 v17, v17, v27, 1.0
	v_cmp_eq_u32_e32 vcc, 0, v19
	v_lshlrev_b32_e32 v14, 30, v14
	v_cndmask_b32_e64 v15, -v15, v17, vcc
	v_and_b32_e32 v14, 0x80000000, v14
	v_xor_b32_e32 v14, v14, v15
	v_cndmask_b32_e64 v11, v11, v14, s[6:7]
	v_mul_f32_e32 v11, v16, v11
	s_mov_b32 s6, 0xf800000
	v_fmac_f32_e32 v11, v18, v13
	v_cmp_gt_f32_e32 vcc, s6, v12
	v_mul_f32_e32 v13, 0x4f800000, v12
	v_cndmask_b32_e32 v12, v12, v13, vcc
	v_sqrt_f32_e32 v13, v12
	v_mul_f32_e32 v11, 0x3f4c422a, v11
	v_add_u32_e32 v14, -1, v13
	v_fma_f32 v15, -v14, v13, v12
	v_cmp_ge_f32_e64 s[6:7], 0, v15
	v_add_u32_e32 v15, 1, v13
	v_cndmask_b32_e64 v14, v13, v14, s[6:7]
	v_fma_f32 v13, -v15, v13, v12
	v_cmp_lt_f32_e64 s[6:7], 0, v13
	v_cndmask_b32_e64 v13, v14, v15, s[6:7]
	v_mul_f32_e32 v14, 0x37800000, v13
	v_cndmask_b32_e32 v13, v13, v14, vcc
	v_mov_b32_e32 v14, 0x260
	v_cmp_class_f32_e32 vcc, v12, v14
	v_cndmask_b32_e32 v12, v13, v12, vcc
	v_div_scale_f32 v13, s[6:7], v12, v12, v11
	v_rcp_f32_e32 v14, v13
	v_fma_f32 v15, -v13, v14, 1.0
	v_fmac_f32_e32 v14, v15, v14
	v_div_scale_f32 v15, vcc, v11, v12, v11
	v_mul_f32_e32 v16, v15, v14
	v_fma_f32 v17, -v13, v16, v15
	v_fmac_f32_e32 v16, v17, v14
	v_fma_f32 v13, -v13, v16, v15
	v_div_fmas_f32 v13, v13, v14, v16
	v_div_fixup_f32 v11, v13, v12, v11
.LBB12_51:
	s_or_b64 exec, exec, s[14:15]
.LBB12_52:
	s_or_b64 exec, exec, s[12:13]
	s_waitcnt vmcnt(0) lgkmcnt(0)
	v_add_u32_e32 v12, 0x200, v7
	v_cmp_lt_i32_e32 vcc, v12, v4
	s_and_saveexec_b64 s[12:13], vcc
	s_cbranch_execz .LBB12_74
; %bb.53:
	s_mov_b32 s6, 0x40a00000
	v_cmp_ge_f32_e32 vcc, s6, v8
	s_and_saveexec_b64 s[6:7], vcc
	s_xor_b64 s[8:9], exec, s[6:7]
                                        ; implicit-def: $vgpr10
	s_cbranch_execz .LBB12_63
; %bb.54:
	v_cmp_neq_f32_e32 vcc, 0, v8
	v_mov_b32_e32 v10, 0xff800000
	s_and_saveexec_b64 s[10:11], vcc
	s_cbranch_execz .LBB12_62
; %bb.55:
	v_cmp_ngt_f32_e32 vcc, 0, v8
	v_mov_b32_e32 v10, 0x7fc00000
	s_and_saveexec_b64 s[14:15], vcc
	s_cbranch_execz .LBB12_61
; %bb.56:
	v_mul_f32_e32 v10, v8, v8
	s_mov_b32 s6, 0x3727c5ac
	v_mul_f32_e32 v13, 0, v10
	v_cmp_ngt_f32_e32 vcc, s6, v8
                                        ; implicit-def: $vgpr12
	s_and_saveexec_b64 s[6:7], vcc
	s_xor_b64 s[6:7], exec, s[6:7]
	s_cbranch_execz .LBB12_58
; %bb.57:
	v_add_f32_e32 v12, 0xcf8ee29d, v13
	v_mov_b32_e32 v14, 0x53e3ba8e
	v_fmac_f32_e32 v14, v10, v12
	v_mov_b32_e32 v12, 0xd762b0a7
	v_fmac_f32_e32 v12, v10, v14
	v_add_f32_e32 v14, 0x43f9c815, v13
	v_mov_b32_e32 v15, 0x4829b65a
	v_fmac_f32_e32 v15, v10, v14
	v_mov_b32_e32 v14, 0x4c38c9a1
	v_fmac_f32_e32 v14, v10, v15
	;; [unrolled: 2-line block ×8, first 2 shown]
	v_add_f32_e32 v12, 0xc0b90fdc, v10
	v_add_f32_e32 v16, 0xc1f3c525, v10
	v_mul_f32_e32 v12, v12, v16
	v_mul_f32_e32 v12, v12, v14
	v_div_scale_f32 v14, s[16:17], v15, v15, v12
	v_div_scale_f32 v16, vcc, v12, v15, v12
	v_rcp_f32_e32 v17, v14
	v_fma_f32 v18, -v14, v17, 1.0
	v_fmac_f32_e32 v17, v18, v17
	v_mul_f32_e32 v18, v16, v17
	v_fma_f32 v19, -v14, v18, v16
	v_fmac_f32_e32 v18, v19, v17
	v_fma_f32 v14, -v14, v18, v16
	v_div_fmas_f32 v14, v14, v17, v18
	v_div_fixup_f32 v12, v14, v15, v12
.LBB12_58:
	s_andn2_saveexec_b64 s[6:7], s[6:7]
; %bb.59:
	s_mov_b32 s16, 0xbe800000
	v_fma_f32 v12, v10, s16, 1.0
; %bb.60:
	s_or_b64 exec, exec, s[6:7]
	v_add_f32_e32 v14, 0x4673a1bf, v13
	v_mov_b32_e32 v15, 0xcb5fc0fa
	v_fmac_f32_e32 v15, v10, v14
	v_mov_b32_e32 v14, 0x4fa1fbc8
	v_fmac_f32_e32 v14, v10, v15
	;; [unrolled: 2-line block ×6, first 2 shown]
	v_add_f32_e32 v13, 0x44822913, v13
	v_mov_b32_e32 v15, 0x4918dbb5
	v_fmac_f32_e32 v15, v10, v13
	v_mov_b32_e32 v13, 0x4d803b1b
	v_fmac_f32_e32 v13, v10, v15
	;; [unrolled: 2-line block ×7, first 2 shown]
	v_div_scale_f32 v10, s[6:7], v13, v13, v15
	v_div_scale_f32 v14, vcc, v15, v13, v15
	s_mov_b32 s6, 0x800000
	v_rcp_f32_e32 v16, v10
	v_fma_f32 v17, -v10, v16, 1.0
	v_fmac_f32_e32 v16, v17, v16
	v_mul_f32_e32 v17, v14, v16
	v_fma_f32 v18, -v10, v17, v14
	v_fmac_f32_e32 v17, v18, v16
	v_fma_f32 v10, -v10, v17, v14
	v_div_fmas_f32 v10, v10, v16, v17
	v_cmp_gt_f32_e32 vcc, s6, v8
	v_cndmask_b32_e64 v14, 0, 32, vcc
	v_ldexp_f32 v8, v8, v14
	v_log_f32_e32 v8, v8
	s_mov_b32 s6, 0x3f317217
	v_mul_f32_e32 v14, 0x3f317217, v8
	v_fma_f32 v14, v8, s6, -v14
	v_fmac_f32_e32 v14, 0x3377d1cf, v8
	s_mov_b32 s6, 0x7f800000
	v_fmac_f32_e32 v14, 0x3f317217, v8
	v_cmp_lt_f32_e64 s[6:7], |v8|, s6
	v_cndmask_b32_e64 v8, v8, v14, s[6:7]
	v_div_fixup_f32 v10, v10, v13, v15
	v_mov_b32_e32 v13, 0x41b17218
	v_cndmask_b32_e32 v13, 0, v13, vcc
	v_sub_f32_e32 v8, v8, v13
	v_mul_f32_e32 v8, 0x3f22f983, v8
	v_fmac_f32_e32 v10, v8, v12
.LBB12_61:
	s_or_b64 exec, exec, s[14:15]
.LBB12_62:
	s_or_b64 exec, exec, s[10:11]
                                        ; implicit-def: $vgpr8
.LBB12_63:
	s_andn2_saveexec_b64 s[14:15], s[8:9]
	s_cbranch_execz .LBB12_73
; %bb.64:
	v_add_f32_e32 v10, 0xbf490fdb, v8
	v_and_b32_e32 v12, 0x7fffffff, v10
	s_brev_b32 s6, 18
	v_cmp_nlt_f32_e64 s[16:17], |v10|, s6
	v_lshrrev_b32_e32 v17, 23, v12
                                        ; implicit-def: $vgpr15
                                        ; implicit-def: $vgpr16
	s_and_saveexec_b64 s[6:7], s[16:17]
	s_xor_b64 s[18:19], exec, s[6:7]
	s_cbranch_execz .LBB12_66
; %bb.65:
	v_and_b32_e32 v13, 0x7fffff, v12
	v_or_b32_e32 v16, 0x800000, v13
	s_mov_b32 s6, 0xfe5163ab
	v_mad_u64_u32 v[13:14], s[6:7], v16, s6, 0
	v_mov_b32_e32 v15, 0
	s_mov_b32 s6, 0x3c439041
	v_mad_u64_u32 v[18:19], s[6:7], v16, s6, v[14:15]
	s_mov_b32 s6, 0xdb629599
	v_add_u32_e32 v23, 0xffffff88, v17
	v_mov_b32_e32 v14, v19
	v_mad_u64_u32 v[19:20], s[6:7], v16, s6, v[14:15]
	s_mov_b32 s6, 0xf534ddc0
	v_not_b32_e32 v24, 63
	v_mov_b32_e32 v14, v20
	v_mad_u64_u32 v[20:21], s[6:7], v16, s6, v[14:15]
	s_mov_b32 s6, 0xfc2757d1
	v_cmp_lt_u32_e32 vcc, 63, v23
	v_mov_b32_e32 v14, v21
	v_mad_u64_u32 v[21:22], s[6:7], v16, s6, v[14:15]
	v_cndmask_b32_e32 v14, 0, v24, vcc
	v_add_u32_e32 v24, v14, v23
	v_mov_b32_e32 v14, v22
	s_mov_b32 s6, 0x4e441529
	v_mad_u64_u32 v[22:23], s[6:7], v16, s6, v[14:15]
	v_not_b32_e32 v25, 31
	v_cmp_lt_u32_e64 s[6:7], 31, v24
	v_cndmask_b32_e64 v14, 0, v25, s[6:7]
	v_add_u32_e32 v24, v14, v24
	v_mov_b32_e32 v14, v23
	s_mov_b32 s8, 0xa2f9836e
	v_mad_u64_u32 v[14:15], s[8:9], v16, s8, v[14:15]
	v_cmp_lt_u32_e64 s[8:9], 31, v24
	v_cndmask_b32_e64 v16, 0, v25, s[8:9]
	v_cndmask_b32_e32 v23, v22, v20, vcc
	v_cndmask_b32_e32 v14, v14, v21, vcc
	;; [unrolled: 1-line block ×3, first 2 shown]
	v_add_u32_e32 v16, v16, v24
	v_cndmask_b32_e64 v24, v14, v23, s[6:7]
	v_cndmask_b32_e64 v14, v15, v14, s[6:7]
	v_cndmask_b32_e32 v15, v21, v19, vcc
	v_cndmask_b32_e64 v21, v23, v15, s[6:7]
	v_sub_u32_e32 v23, 32, v16
	v_cmp_eq_u32_e64 s[10:11], 0, v16
	v_cndmask_b32_e32 v16, v20, v18, vcc
	v_cndmask_b32_e64 v14, v14, v24, s[8:9]
	v_cndmask_b32_e64 v22, v24, v21, s[8:9]
	;; [unrolled: 1-line block ×3, first 2 shown]
	v_alignbit_b32 v24, v14, v22, v23
	v_cndmask_b32_e64 v18, v21, v15, s[8:9]
	v_cndmask_b32_e64 v14, v24, v14, s[10:11]
	v_alignbit_b32 v20, v22, v18, v23
	v_cndmask_b32_e32 v13, v19, v13, vcc
	v_cndmask_b32_e64 v20, v20, v22, s[10:11]
	v_bfe_u32 v24, v14, 29, 1
	v_cndmask_b32_e64 v13, v16, v13, s[6:7]
	v_alignbit_b32 v21, v14, v20, 30
	v_sub_u32_e32 v25, 0, v24
	v_cndmask_b32_e64 v13, v15, v13, s[8:9]
	v_xor_b32_e32 v21, v21, v25
	v_alignbit_b32 v15, v18, v13, v23
	v_cndmask_b32_e64 v15, v15, v18, s[10:11]
	v_ffbh_u32_e32 v18, v21
	v_alignbit_b32 v16, v20, v15, 30
	v_min_u32_e32 v18, 32, v18
	v_alignbit_b32 v13, v15, v13, 30
	v_xor_b32_e32 v16, v16, v25
	v_sub_u32_e32 v19, 31, v18
	v_xor_b32_e32 v13, v13, v25
	v_alignbit_b32 v20, v21, v16, v19
	v_alignbit_b32 v13, v16, v13, v19
	;; [unrolled: 1-line block ×3, first 2 shown]
	v_ffbh_u32_e32 v16, v15
	v_min_u32_e32 v16, 32, v16
	v_lshrrev_b32_e32 v22, 29, v14
	v_not_b32_e32 v19, v16
	v_alignbit_b32 v13, v15, v13, v19
	v_lshlrev_b32_e32 v15, 31, v22
	v_or_b32_e32 v19, 0x33000000, v15
	v_add_lshl_u32 v16, v16, v18, 23
	v_lshrrev_b32_e32 v13, 9, v13
	v_sub_u32_e32 v16, v19, v16
	v_or_b32_e32 v15, 0.5, v15
	v_lshlrev_b32_e32 v18, 23, v18
	v_or_b32_e32 v13, v16, v13
	v_lshrrev_b32_e32 v16, 9, v20
	v_sub_u32_e32 v15, v15, v18
	v_or_b32_e32 v15, v16, v15
	s_mov_b32 s6, 0x3fc90fda
	v_mul_f32_e32 v16, 0x3fc90fda, v15
	v_fma_f32 v18, v15, s6, -v16
	v_fmac_f32_e32 v18, 0x33a22168, v15
	v_fmac_f32_e32 v18, 0x3fc90fda, v13
	v_lshrrev_b32_e32 v13, 30, v14
	v_add_f32_e32 v16, v16, v18
	v_add_u32_e32 v15, v24, v13
	s_andn2_saveexec_b64 s[6:7], s[18:19]
	s_cbranch_execz .LBB12_68
	s_branch .LBB12_67
.LBB12_66:
	s_andn2_saveexec_b64 s[6:7], s[18:19]
	s_cbranch_execz .LBB12_68
.LBB12_67:
	s_mov_b32 s8, 0x3f22f983
	v_mul_f32_e64 v13, |v10|, s8
	v_rndne_f32_e32 v13, v13
	s_mov_b32 s8, 0xbfc90fda
	v_cvt_i32_f32_e32 v15, v13
	v_fma_f32 v16, v13, s8, |v10|
	v_fmac_f32_e32 v16, 0xb3a22168, v13
	v_fmac_f32_e32 v16, 0xa7c234c4, v13
.LBB12_68:
	s_or_b64 exec, exec, s[6:7]
                                        ; implicit-def: $vgpr13
                                        ; implicit-def: $vgpr14
	s_and_saveexec_b64 s[6:7], s[16:17]
	s_xor_b64 s[16:17], exec, s[6:7]
	s_cbranch_execz .LBB12_70
; %bb.69:
	v_and_b32_e32 v13, 0x7fffff, v12
	v_or_b32_e32 v25, 0x800000, v13
	s_mov_b32 s6, 0xfe5163ab
	v_mad_u64_u32 v[13:14], s[6:7], v25, s6, 0
	v_mov_b32_e32 v19, 0
	s_mov_b32 s6, 0x3c439041
	v_mov_b32_e32 v18, v14
	v_mad_u64_u32 v[20:21], s[6:7], v25, s6, v[18:19]
	s_mov_b32 s6, 0xdb629599
	v_add_u32_e32 v14, 0xffffff88, v17
	v_mov_b32_e32 v18, v21
	v_mad_u64_u32 v[21:22], s[6:7], v25, s6, v[18:19]
	s_mov_b32 s6, 0xf534ddc0
	v_not_b32_e32 v24, 63
	v_mov_b32_e32 v18, v22
	v_mad_u64_u32 v[22:23], s[6:7], v25, s6, v[18:19]
	s_mov_b32 s6, 0xfc2757d1
	v_cmp_lt_u32_e32 vcc, 63, v14
	v_mov_b32_e32 v18, v23
	v_mad_u64_u32 v[17:18], s[6:7], v25, s6, v[18:19]
	v_cndmask_b32_e32 v23, 0, v24, vcc
	s_mov_b32 s6, 0x4e441529
	v_add_u32_e32 v14, v23, v14
	v_mad_u64_u32 v[23:24], s[6:7], v25, s6, v[18:19]
	v_not_b32_e32 v26, 31
	v_cmp_lt_u32_e64 s[6:7], 31, v14
	v_cndmask_b32_e64 v18, 0, v26, s[6:7]
	v_add_u32_e32 v14, v18, v14
	v_mov_b32_e32 v18, v24
	s_mov_b32 s8, 0xa2f9836e
	v_mad_u64_u32 v[18:19], s[8:9], v25, s8, v[18:19]
	v_cmp_lt_u32_e64 s[8:9], 31, v14
	v_cndmask_b32_e64 v24, 0, v26, s[8:9]
	v_add_u32_e32 v14, v24, v14
	v_cndmask_b32_e32 v24, v23, v22, vcc
	v_cndmask_b32_e32 v18, v18, v17, vcc
	;; [unrolled: 1-line block ×4, first 2 shown]
	v_cndmask_b32_e64 v25, v18, v24, s[6:7]
	v_cndmask_b32_e64 v18, v19, v18, s[6:7]
	;; [unrolled: 1-line block ×3, first 2 shown]
	v_sub_u32_e32 v24, 32, v14
	v_cmp_eq_u32_e64 s[10:11], 0, v14
	v_cndmask_b32_e32 v14, v22, v20, vcc
	v_cndmask_b32_e64 v18, v18, v25, s[8:9]
	v_cndmask_b32_e64 v23, v25, v19, s[8:9]
	;; [unrolled: 1-line block ×3, first 2 shown]
	v_alignbit_b32 v25, v18, v23, v24
	v_cndmask_b32_e64 v19, v19, v17, s[8:9]
	v_cndmask_b32_e64 v18, v25, v18, s[10:11]
	v_alignbit_b32 v20, v23, v19, v24
	v_cndmask_b32_e32 v13, v21, v13, vcc
	v_cndmask_b32_e64 v20, v20, v23, s[10:11]
	v_bfe_u32 v25, v18, 29, 1
	v_cndmask_b32_e64 v13, v14, v13, s[6:7]
	v_alignbit_b32 v22, v18, v20, 30
	v_sub_u32_e32 v26, 0, v25
	v_cndmask_b32_e64 v13, v17, v13, s[8:9]
	v_xor_b32_e32 v22, v22, v26
	v_alignbit_b32 v14, v19, v13, v24
	v_cndmask_b32_e64 v14, v14, v19, s[10:11]
	v_ffbh_u32_e32 v19, v22
	v_alignbit_b32 v17, v20, v14, 30
	v_min_u32_e32 v19, 32, v19
	v_alignbit_b32 v13, v14, v13, 30
	v_xor_b32_e32 v17, v17, v26
	v_sub_u32_e32 v20, 31, v19
	v_xor_b32_e32 v13, v13, v26
	v_alignbit_b32 v21, v22, v17, v20
	v_alignbit_b32 v13, v17, v13, v20
	;; [unrolled: 1-line block ×3, first 2 shown]
	v_ffbh_u32_e32 v17, v14
	v_min_u32_e32 v17, 32, v17
	v_lshrrev_b32_e32 v23, 29, v18
	v_not_b32_e32 v20, v17
	v_alignbit_b32 v13, v14, v13, v20
	v_lshlrev_b32_e32 v14, 31, v23
	v_or_b32_e32 v20, 0x33000000, v14
	v_add_lshl_u32 v17, v17, v19, 23
	v_lshrrev_b32_e32 v13, 9, v13
	v_sub_u32_e32 v17, v20, v17
	v_or_b32_e32 v14, 0.5, v14
	v_lshlrev_b32_e32 v19, 23, v19
	v_or_b32_e32 v13, v17, v13
	v_lshrrev_b32_e32 v17, 9, v21
	v_sub_u32_e32 v14, v14, v19
	v_or_b32_e32 v14, v17, v14
	s_mov_b32 s6, 0x3fc90fda
	v_mul_f32_e32 v17, 0x3fc90fda, v14
	v_fma_f32 v19, v14, s6, -v17
	v_fmac_f32_e32 v19, 0x33a22168, v14
	v_fmac_f32_e32 v19, 0x3fc90fda, v13
	v_lshrrev_b32_e32 v13, 30, v18
	v_add_f32_e32 v14, v17, v19
	v_add_u32_e32 v13, v25, v13
	s_andn2_saveexec_b64 s[6:7], s[16:17]
	s_cbranch_execnz .LBB12_71
	s_branch .LBB12_72
.LBB12_70:
	s_andn2_saveexec_b64 s[6:7], s[16:17]
	s_cbranch_execz .LBB12_72
.LBB12_71:
	s_mov_b32 s8, 0x3f22f983
	v_mul_f32_e64 v13, |v10|, s8
	v_rndne_f32_e32 v17, v13
	s_mov_b32 s8, 0xbfc90fda
	v_cvt_i32_f32_e32 v13, v17
	v_fma_f32 v14, v17, s8, |v10|
	v_fmac_f32_e32 v14, 0xb3a22168, v17
	v_fmac_f32_e32 v14, 0xa7c234c4, v17
.LBB12_72:
	s_or_b64 exec, exec, s[6:7]
	v_mul_f32_e32 v17, v8, v8
	s_mov_b32 s8, 0x41c80000
	v_div_scale_f32 v18, s[6:7], v17, v17, s8
	v_mov_b32_e32 v26, 0xbf000004
	v_xor_b32_e32 v12, v12, v10
	s_mov_b32 s10, 0x40a00000
	v_rcp_f32_e32 v19, v18
	v_fma_f32 v20, -v18, v19, 1.0
	v_fmac_f32_e32 v19, v20, v19
	v_div_scale_f32 v20, vcc, s8, v17, s8
	v_mul_f32_e32 v21, v20, v19
	v_fma_f32 v22, -v18, v21, v20
	v_fmac_f32_e32 v21, v22, v19
	v_fma_f32 v18, -v18, v21, v20
	v_div_fmas_f32 v18, v18, v19, v21
	v_mov_b32_e32 v19, 0x3da9a586
	v_mov_b32_e32 v20, 0x3daf5e2d
	;; [unrolled: 1-line block ×4, first 2 shown]
	v_div_fixup_f32 v17, v18, v17, s8
	v_mov_b32_e32 v18, 0x3a50e985
	v_fmac_f32_e32 v18, 0, v17
	v_fmac_f32_e32 v19, v17, v18
	v_mov_b32_e32 v18, 0x3f9ea90a
	v_fmac_f32_e32 v18, v17, v19
	v_mov_b32_e32 v19, 0x40ae4fdf
	;; [unrolled: 2-line block ×5, first 2 shown]
	v_fmac_f32_e32 v18, 0, v17
	v_fmac_f32_e32 v20, v17, v18
	v_mov_b32_e32 v18, 0x3fa07396
	v_fmac_f32_e32 v18, v17, v20
	v_mov_b32_e32 v20, 0x40af123f
	;; [unrolled: 2-line block ×4, first 2 shown]
	v_fmac_f32_e32 v20, v17, v18
	v_fma_f32 v18, v17, v20, 1.0
	v_mov_b32_e32 v20, 0xbc3a3a12
	v_fmac_f32_e32 v20, 0, v17
	v_fmac_f32_e32 v21, v17, v20
	v_mov_b32_e32 v20, 0xc19c6e80
	v_fmac_f32_e32 v20, v17, v21
	v_mov_b32_e32 v21, 0xc2ba697b
	;; [unrolled: 2-line block ×7, first 2 shown]
	v_fmac_f32_e32 v20, 0, v17
	v_fmac_f32_e32 v22, v17, v20
	v_mov_b32_e32 v20, 0x4572a66e
	v_fmac_f32_e32 v20, v17, v22
	v_mov_b32_e32 v22, 0x45e243be
	;; [unrolled: 2-line block ×5, first 2 shown]
	v_fmac_f32_e32 v20, v17, v22
	v_fma_f32 v17, v17, v19, 1.0
	v_div_scale_f32 v19, s[6:7], v18, v18, v17
	s_movk_i32 s6, 0x1f8
	v_cmp_class_f32_e64 s[6:7], v10, s6
	v_mov_b32_e32 v10, 0x7fc00000
	v_rcp_f32_e32 v22, v19
	v_fma_f32 v23, -v19, v22, 1.0
	v_fmac_f32_e32 v22, v23, v22
	v_div_scale_f32 v23, vcc, v17, v18, v17
	v_mul_f32_e32 v24, v23, v22
	v_fma_f32 v25, -v19, v24, v23
	v_fmac_f32_e32 v24, v25, v22
	v_fma_f32 v19, -v19, v24, v23
	v_div_fmas_f32 v19, v19, v22, v24
	v_mov_b32_e32 v24, 0xbab64f3b
	v_mov_b32_e32 v22, 0x3c0881c4
	;; [unrolled: 1-line block ×4, first 2 shown]
	v_div_fixup_f32 v17, v19, v18, v17
	v_mul_f32_e32 v18, v16, v16
	v_fmac_f32_e32 v24, 0x37d75334, v18
	v_fmac_f32_e32 v22, 0xb94c1982, v18
	v_fma_f32 v24, v18, v24, v25
	v_fma_f32 v22, v18, v22, v23
	;; [unrolled: 1-line block ×3, first 2 shown]
	v_mul_f32_e32 v22, v18, v22
	v_fma_f32 v18, v18, v24, 1.0
	v_and_b32_e32 v24, 1, v15
	v_lshlrev_b32_e32 v15, 30, v15
	v_and_b32_e32 v15, 0x80000000, v15
	v_xor_b32_e32 v12, v12, v15
	v_div_scale_f32 v15, s[8:9], v8, v8, s10
	v_fmac_f32_e32 v16, v16, v22
	v_cmp_eq_u32_e32 vcc, 0, v24
	v_cndmask_b32_e32 v16, v18, v16, vcc
	v_xor_b32_e32 v12, v12, v16
	v_mov_b32_e32 v19, 0x3c0881c4
	v_mov_b32_e32 v22, 0xbab64f3b
	v_cndmask_b32_e64 v12, v10, v12, s[6:7]
	v_rcp_f32_e32 v16, v15
	v_fma_f32 v18, -v15, v16, 1.0
	v_fmac_f32_e32 v16, v18, v16
	v_div_scale_f32 v18, vcc, s10, v8, s10
	v_mul_f32_e32 v24, v18, v16
	v_fma_f32 v27, -v15, v24, v18
	v_fmac_f32_e32 v24, v27, v16
	v_fma_f32 v15, -v15, v24, v18
	v_div_fmas_f32 v15, v15, v16, v24
	v_div_scale_f32 v16, s[8:9], v20, v20, v21
	v_div_fixup_f32 v15, v15, v8, s10
	v_rcp_f32_e32 v18, v16
	v_fma_f32 v24, -v16, v18, 1.0
	v_fmac_f32_e32 v18, v24, v18
	v_div_scale_f32 v24, vcc, v21, v20, v21
	v_mul_f32_e32 v27, v24, v18
	v_fma_f32 v28, -v16, v27, v24
	v_fmac_f32_e32 v27, v28, v18
	v_fma_f32 v16, -v16, v27, v24
	v_div_fmas_f32 v16, v16, v18, v27
	v_div_fixup_f32 v16, v16, v20, v21
	v_mul_f32_e32 v15, v15, v16
	v_mul_f32_e32 v16, v14, v14
	v_fmac_f32_e32 v19, 0xb94c1982, v16
	v_fmac_f32_e32 v23, v16, v19
	;; [unrolled: 1-line block ×3, first 2 shown]
	v_mul_f32_e32 v18, v16, v23
	v_fmac_f32_e32 v25, v16, v22
	v_fmac_f32_e32 v14, v14, v18
	;; [unrolled: 1-line block ×3, first 2 shown]
	v_and_b32_e32 v18, 1, v13
	v_fma_f32 v16, v16, v26, 1.0
	v_cmp_eq_u32_e32 vcc, 0, v18
	v_lshlrev_b32_e32 v13, 30, v13
	v_cndmask_b32_e64 v14, -v14, v16, vcc
	v_and_b32_e32 v13, 0x80000000, v13
	v_xor_b32_e32 v13, v13, v14
	v_cndmask_b32_e64 v10, v10, v13, s[6:7]
	v_mul_f32_e32 v10, v15, v10
	s_mov_b32 s6, 0xf800000
	v_fmac_f32_e32 v10, v17, v12
	v_cmp_gt_f32_e32 vcc, s6, v8
	v_mul_f32_e32 v12, 0x4f800000, v8
	v_cndmask_b32_e32 v8, v8, v12, vcc
	v_sqrt_f32_e32 v12, v8
	v_mul_f32_e32 v10, 0x3f4c422a, v10
	v_add_u32_e32 v13, -1, v12
	v_fma_f32 v14, -v13, v12, v8
	v_cmp_ge_f32_e64 s[6:7], 0, v14
	v_add_u32_e32 v14, 1, v12
	v_cndmask_b32_e64 v13, v12, v13, s[6:7]
	v_fma_f32 v12, -v14, v12, v8
	v_cmp_lt_f32_e64 s[6:7], 0, v12
	v_cndmask_b32_e64 v12, v13, v14, s[6:7]
	v_mul_f32_e32 v13, 0x37800000, v12
	v_cndmask_b32_e32 v12, v12, v13, vcc
	v_mov_b32_e32 v13, 0x260
	v_cmp_class_f32_e32 vcc, v8, v13
	v_cndmask_b32_e32 v8, v12, v8, vcc
	v_div_scale_f32 v12, s[6:7], v8, v8, v10
	v_rcp_f32_e32 v13, v12
	v_fma_f32 v14, -v12, v13, 1.0
	v_fmac_f32_e32 v13, v14, v13
	v_div_scale_f32 v14, vcc, v10, v8, v10
	v_mul_f32_e32 v15, v14, v13
	v_fma_f32 v16, -v12, v15, v14
	v_fmac_f32_e32 v15, v16, v13
	v_fma_f32 v12, -v12, v15, v14
	v_div_fmas_f32 v12, v12, v13, v15
	v_div_fixup_f32 v10, v12, v8, v10
.LBB12_73:
	s_or_b64 exec, exec, s[14:15]
.LBB12_74:
	s_or_b64 exec, exec, s[12:13]
	v_add_u32_e32 v8, 0x300, v7
	v_cmp_lt_i32_e32 vcc, v8, v4
	s_and_saveexec_b64 s[12:13], vcc
	s_cbranch_execz .LBB12_88
; %bb.75:
	s_mov_b32 s6, 0x40a00000
	v_cmp_ge_f32_e32 vcc, s6, v6
	s_and_saveexec_b64 s[6:7], vcc
	s_xor_b64 s[8:9], exec, s[6:7]
                                        ; implicit-def: $vgpr9
	s_cbranch_execz .LBB12_85
; %bb.76:
	v_cmp_neq_f32_e32 vcc, 0, v6
	v_mov_b32_e32 v9, 0xff800000
	s_and_saveexec_b64 s[10:11], vcc
	s_cbranch_execz .LBB12_84
; %bb.77:
	v_cmp_ngt_f32_e32 vcc, 0, v6
	v_mov_b32_e32 v9, 0x7fc00000
	s_and_saveexec_b64 s[14:15], vcc
	s_cbranch_execz .LBB12_83
; %bb.78:
	v_mul_f32_e32 v8, v6, v6
	s_mov_b32 s6, 0x3727c5ac
	v_mul_f32_e32 v9, 0, v8
	v_cmp_ngt_f32_e32 vcc, s6, v6
                                        ; implicit-def: $vgpr12
	s_and_saveexec_b64 s[6:7], vcc
	s_xor_b64 s[6:7], exec, s[6:7]
	s_cbranch_execz .LBB12_80
; %bb.79:
	v_add_f32_e32 v12, 0xcf8ee29d, v9
	v_mov_b32_e32 v13, 0x53e3ba8e
	v_fmac_f32_e32 v13, v8, v12
	v_mov_b32_e32 v12, 0xd762b0a7
	v_fmac_f32_e32 v12, v8, v13
	v_add_f32_e32 v13, 0x43f9c815, v9
	v_mov_b32_e32 v14, 0x4829b65a
	v_fmac_f32_e32 v14, v8, v13
	v_mov_b32_e32 v13, 0x4c38c9a1
	v_fmac_f32_e32 v13, v8, v14
	;; [unrolled: 2-line block ×8, first 2 shown]
	v_add_f32_e32 v12, 0xc0b90fdc, v8
	v_add_f32_e32 v15, 0xc1f3c525, v8
	v_mul_f32_e32 v12, v12, v15
	v_mul_f32_e32 v12, v12, v13
	v_div_scale_f32 v13, s[16:17], v14, v14, v12
	v_div_scale_f32 v15, vcc, v12, v14, v12
	v_rcp_f32_e32 v16, v13
	v_fma_f32 v17, -v13, v16, 1.0
	v_fmac_f32_e32 v16, v17, v16
	v_mul_f32_e32 v17, v15, v16
	v_fma_f32 v18, -v13, v17, v15
	v_fmac_f32_e32 v17, v18, v16
	v_fma_f32 v13, -v13, v17, v15
	v_div_fmas_f32 v13, v13, v16, v17
	v_div_fixup_f32 v12, v13, v14, v12
.LBB12_80:
	s_andn2_saveexec_b64 s[6:7], s[6:7]
; %bb.81:
	s_mov_b32 s16, 0xbe800000
	v_fma_f32 v12, v8, s16, 1.0
; %bb.82:
	s_or_b64 exec, exec, s[6:7]
	v_add_f32_e32 v13, 0x4673a1bf, v9
	v_mov_b32_e32 v14, 0xcb5fc0fa
	v_fmac_f32_e32 v14, v8, v13
	v_mov_b32_e32 v13, 0x4fa1fbc8
	v_fmac_f32_e32 v13, v8, v14
	;; [unrolled: 2-line block ×6, first 2 shown]
	v_add_f32_e32 v9, 0x44822913, v9
	v_mov_b32_e32 v14, 0x4918dbb5
	v_fmac_f32_e32 v14, v8, v9
	v_mov_b32_e32 v9, 0x4d803b1b
	v_fmac_f32_e32 v9, v8, v14
	;; [unrolled: 2-line block ×7, first 2 shown]
	v_div_scale_f32 v8, s[6:7], v9, v9, v14
	v_div_scale_f32 v13, vcc, v14, v9, v14
	s_mov_b32 s6, 0x800000
	v_rcp_f32_e32 v15, v8
	v_fma_f32 v16, -v8, v15, 1.0
	v_fmac_f32_e32 v15, v16, v15
	v_mul_f32_e32 v16, v13, v15
	v_fma_f32 v17, -v8, v16, v13
	v_fmac_f32_e32 v16, v17, v15
	v_fma_f32 v8, -v8, v16, v13
	v_div_fmas_f32 v8, v8, v15, v16
	v_cmp_gt_f32_e32 vcc, s6, v6
	v_cndmask_b32_e64 v13, 0, 32, vcc
	v_ldexp_f32 v6, v6, v13
	v_log_f32_e32 v6, v6
	s_mov_b32 s6, 0x3f317217
	v_mul_f32_e32 v13, 0x3f317217, v6
	v_fma_f32 v13, v6, s6, -v13
	v_fmac_f32_e32 v13, 0x3377d1cf, v6
	s_mov_b32 s6, 0x7f800000
	v_fmac_f32_e32 v13, 0x3f317217, v6
	v_cmp_lt_f32_e64 s[6:7], |v6|, s6
	v_cndmask_b32_e64 v6, v6, v13, s[6:7]
	v_div_fixup_f32 v9, v8, v9, v14
	v_mov_b32_e32 v8, 0x41b17218
	v_cndmask_b32_e32 v8, 0, v8, vcc
	v_sub_f32_e32 v6, v6, v8
	v_mul_f32_e32 v6, 0x3f22f983, v6
	v_fmac_f32_e32 v9, v6, v12
.LBB12_83:
	s_or_b64 exec, exec, s[14:15]
.LBB12_84:
	s_or_b64 exec, exec, s[10:11]
                                        ; implicit-def: $vgpr6
.LBB12_85:
	s_andn2_saveexec_b64 s[14:15], s[8:9]
	s_cbranch_execz .LBB12_100
; %bb.86:
	v_add_f32_e32 v8, 0xbf490fdb, v6
	v_and_b32_e32 v9, 0x7fffffff, v8
	s_brev_b32 s6, 18
	v_cmp_nlt_f32_e64 s[16:17], |v8|, s6
	v_lshrrev_b32_e32 v16, 23, v9
                                        ; implicit-def: $vgpr14
                                        ; implicit-def: $vgpr15
	s_and_saveexec_b64 s[6:7], s[16:17]
	s_xor_b64 s[18:19], exec, s[6:7]
	s_cbranch_execz .LBB12_93
; %bb.87:
	v_and_b32_e32 v12, 0x7fffff, v9
	v_or_b32_e32 v15, 0x800000, v12
	s_mov_b32 s6, 0xfe5163ab
	v_mad_u64_u32 v[12:13], s[6:7], v15, s6, 0
	v_mov_b32_e32 v14, 0
	s_mov_b32 s6, 0x3c439041
	v_mad_u64_u32 v[17:18], s[6:7], v15, s6, v[13:14]
	s_mov_b32 s6, 0xdb629599
	v_add_u32_e32 v22, 0xffffff88, v16
	v_mov_b32_e32 v13, v18
	v_mad_u64_u32 v[18:19], s[6:7], v15, s6, v[13:14]
	s_mov_b32 s6, 0xf534ddc0
	v_not_b32_e32 v23, 63
	v_mov_b32_e32 v13, v19
	v_mad_u64_u32 v[19:20], s[6:7], v15, s6, v[13:14]
	s_mov_b32 s6, 0xfc2757d1
	v_cmp_lt_u32_e32 vcc, 63, v22
	v_mov_b32_e32 v13, v20
	v_mad_u64_u32 v[20:21], s[6:7], v15, s6, v[13:14]
	v_cndmask_b32_e32 v13, 0, v23, vcc
	v_add_u32_e32 v23, v13, v22
	v_mov_b32_e32 v13, v21
	s_mov_b32 s6, 0x4e441529
	v_mad_u64_u32 v[21:22], s[6:7], v15, s6, v[13:14]
	v_not_b32_e32 v24, 31
	v_cmp_lt_u32_e64 s[6:7], 31, v23
	v_cndmask_b32_e64 v13, 0, v24, s[6:7]
	v_add_u32_e32 v23, v13, v23
	v_mov_b32_e32 v13, v22
	s_mov_b32 s8, 0xa2f9836e
	v_mad_u64_u32 v[13:14], s[8:9], v15, s8, v[13:14]
	v_cmp_lt_u32_e64 s[8:9], 31, v23
	v_cndmask_b32_e64 v15, 0, v24, s[8:9]
	v_cndmask_b32_e32 v22, v21, v19, vcc
	v_cndmask_b32_e32 v13, v13, v20, vcc
	;; [unrolled: 1-line block ×3, first 2 shown]
	v_add_u32_e32 v15, v15, v23
	v_cndmask_b32_e64 v23, v13, v22, s[6:7]
	v_cndmask_b32_e64 v13, v14, v13, s[6:7]
	v_cndmask_b32_e32 v14, v20, v18, vcc
	v_cndmask_b32_e64 v20, v22, v14, s[6:7]
	v_sub_u32_e32 v22, 32, v15
	v_cmp_eq_u32_e64 s[10:11], 0, v15
	v_cndmask_b32_e32 v15, v19, v17, vcc
	v_cndmask_b32_e64 v13, v13, v23, s[8:9]
	v_cndmask_b32_e64 v21, v23, v20, s[8:9]
	;; [unrolled: 1-line block ×3, first 2 shown]
	v_alignbit_b32 v23, v13, v21, v22
	v_cndmask_b32_e64 v17, v20, v14, s[8:9]
	v_cndmask_b32_e64 v13, v23, v13, s[10:11]
	v_alignbit_b32 v19, v21, v17, v22
	v_cndmask_b32_e32 v12, v18, v12, vcc
	v_cndmask_b32_e64 v19, v19, v21, s[10:11]
	v_bfe_u32 v23, v13, 29, 1
	v_cndmask_b32_e64 v12, v15, v12, s[6:7]
	v_alignbit_b32 v20, v13, v19, 30
	v_sub_u32_e32 v24, 0, v23
	v_cndmask_b32_e64 v12, v14, v12, s[8:9]
	v_xor_b32_e32 v20, v20, v24
	v_alignbit_b32 v14, v17, v12, v22
	v_cndmask_b32_e64 v14, v14, v17, s[10:11]
	v_ffbh_u32_e32 v17, v20
	v_alignbit_b32 v15, v19, v14, 30
	v_min_u32_e32 v17, 32, v17
	v_alignbit_b32 v12, v14, v12, 30
	v_xor_b32_e32 v15, v15, v24
	v_sub_u32_e32 v18, 31, v17
	v_xor_b32_e32 v12, v12, v24
	v_alignbit_b32 v19, v20, v15, v18
	v_alignbit_b32 v12, v15, v12, v18
	;; [unrolled: 1-line block ×3, first 2 shown]
	v_ffbh_u32_e32 v15, v14
	v_min_u32_e32 v15, 32, v15
	v_lshrrev_b32_e32 v21, 29, v13
	v_not_b32_e32 v18, v15
	v_alignbit_b32 v12, v14, v12, v18
	v_lshlrev_b32_e32 v14, 31, v21
	v_or_b32_e32 v18, 0x33000000, v14
	v_add_lshl_u32 v15, v15, v17, 23
	v_lshrrev_b32_e32 v12, 9, v12
	v_sub_u32_e32 v15, v18, v15
	v_or_b32_e32 v14, 0.5, v14
	v_lshlrev_b32_e32 v17, 23, v17
	v_or_b32_e32 v12, v15, v12
	v_lshrrev_b32_e32 v15, 9, v19
	v_sub_u32_e32 v14, v14, v17
	v_or_b32_e32 v14, v15, v14
	s_mov_b32 s6, 0x3fc90fda
	v_mul_f32_e32 v15, 0x3fc90fda, v14
	v_fma_f32 v17, v14, s6, -v15
	v_fmac_f32_e32 v17, 0x33a22168, v14
	v_fmac_f32_e32 v17, 0x3fc90fda, v12
	v_lshrrev_b32_e32 v12, 30, v13
	v_add_f32_e32 v15, v15, v17
	v_add_u32_e32 v14, v23, v12
	s_andn2_saveexec_b64 s[6:7], s[18:19]
	s_cbranch_execz .LBB12_95
	s_branch .LBB12_94
.LBB12_88:
	s_or_b64 exec, exec, s[12:13]
	s_and_saveexec_b64 s[6:7], s[4:5]
	s_xor_b64 s[4:5], exec, s[6:7]
	s_cbranch_execz .LBB12_101
.LBB12_89:
	v_mov_b32_e32 v6, 0
	v_lshlrev_b64 v[5:6], 2, v[5:6]
	v_mov_b32_e32 v7, v3
	v_add_co_u32_e32 v5, vcc, v0, v5
	v_addc_co_u32_e32 v6, vcc, v1, v6, vcc
	flat_store_dword v[5:6], v2
	s_or_b64 exec, exec, s[4:5]
	v_cmp_lt_i32_e32 vcc, v7, v4
	s_and_saveexec_b64 s[4:5], vcc
	s_cbranch_execnz .LBB12_102
.LBB12_90:
	s_or_b64 exec, exec, s[4:5]
	v_cmp_lt_i32_e32 vcc, v7, v4
	s_and_saveexec_b64 s[4:5], vcc
	s_cbranch_execz .LBB12_103
.LBB12_91:
	v_add_u32_e32 v2, s20, v7
	v_mov_b32_e32 v3, 0
	v_lshlrev_b64 v[2:3], 2, v[2:3]
	v_add_u32_e32 v7, 0x100, v7
	v_add_co_u32_e32 v2, vcc, v0, v2
	v_addc_co_u32_e32 v3, vcc, v1, v3, vcc
	flat_store_dword v[2:3], v10
	s_or_b64 exec, exec, s[4:5]
	v_cmp_lt_i32_e32 vcc, v7, v4
	s_and_saveexec_b64 s[4:5], vcc
	s_cbranch_execnz .LBB12_104
.LBB12_92:
	s_or_b64 exec, exec, s[4:5]
	s_waitcnt vmcnt(0) lgkmcnt(0)
	s_setpc_b64 s[30:31]
.LBB12_93:
	s_andn2_saveexec_b64 s[6:7], s[18:19]
	s_cbranch_execz .LBB12_95
.LBB12_94:
	s_mov_b32 s8, 0x3f22f983
	v_mul_f32_e64 v12, |v8|, s8
	v_rndne_f32_e32 v12, v12
	s_mov_b32 s8, 0xbfc90fda
	v_cvt_i32_f32_e32 v14, v12
	v_fma_f32 v15, v12, s8, |v8|
	v_fmac_f32_e32 v15, 0xb3a22168, v12
	v_fmac_f32_e32 v15, 0xa7c234c4, v12
.LBB12_95:
	s_or_b64 exec, exec, s[6:7]
                                        ; implicit-def: $vgpr12
                                        ; implicit-def: $vgpr13
	s_and_saveexec_b64 s[6:7], s[16:17]
	s_xor_b64 s[16:17], exec, s[6:7]
	s_cbranch_execz .LBB12_97
; %bb.96:
	v_and_b32_e32 v12, 0x7fffff, v9
	v_or_b32_e32 v24, 0x800000, v12
	s_mov_b32 s6, 0xfe5163ab
	v_mad_u64_u32 v[12:13], s[6:7], v24, s6, 0
	v_mov_b32_e32 v18, 0
	s_mov_b32 s6, 0x3c439041
	v_mov_b32_e32 v17, v13
	v_mad_u64_u32 v[19:20], s[6:7], v24, s6, v[17:18]
	s_mov_b32 s6, 0xdb629599
	v_add_u32_e32 v13, 0xffffff88, v16
	v_mov_b32_e32 v17, v20
	v_mad_u64_u32 v[20:21], s[6:7], v24, s6, v[17:18]
	s_mov_b32 s6, 0xf534ddc0
	v_not_b32_e32 v23, 63
	v_mov_b32_e32 v17, v21
	v_mad_u64_u32 v[21:22], s[6:7], v24, s6, v[17:18]
	s_mov_b32 s6, 0xfc2757d1
	v_cmp_lt_u32_e32 vcc, 63, v13
	v_mov_b32_e32 v17, v22
	v_mad_u64_u32 v[16:17], s[6:7], v24, s6, v[17:18]
	v_cndmask_b32_e32 v22, 0, v23, vcc
	s_mov_b32 s6, 0x4e441529
	v_add_u32_e32 v13, v22, v13
	v_mad_u64_u32 v[22:23], s[6:7], v24, s6, v[17:18]
	v_not_b32_e32 v25, 31
	v_cmp_lt_u32_e64 s[6:7], 31, v13
	v_cndmask_b32_e64 v17, 0, v25, s[6:7]
	v_add_u32_e32 v13, v17, v13
	v_mov_b32_e32 v17, v23
	s_mov_b32 s8, 0xa2f9836e
	v_mad_u64_u32 v[17:18], s[8:9], v24, s8, v[17:18]
	v_cmp_lt_u32_e64 s[8:9], 31, v13
	v_cndmask_b32_e64 v23, 0, v25, s[8:9]
	v_add_u32_e32 v13, v23, v13
	v_cndmask_b32_e32 v23, v22, v21, vcc
	v_cndmask_b32_e32 v17, v17, v16, vcc
	;; [unrolled: 1-line block ×4, first 2 shown]
	v_cndmask_b32_e64 v24, v17, v23, s[6:7]
	v_cndmask_b32_e64 v17, v18, v17, s[6:7]
	;; [unrolled: 1-line block ×3, first 2 shown]
	v_sub_u32_e32 v23, 32, v13
	v_cmp_eq_u32_e64 s[10:11], 0, v13
	v_cndmask_b32_e32 v13, v21, v19, vcc
	v_cndmask_b32_e64 v17, v17, v24, s[8:9]
	v_cndmask_b32_e64 v22, v24, v18, s[8:9]
	;; [unrolled: 1-line block ×3, first 2 shown]
	v_alignbit_b32 v24, v17, v22, v23
	v_cndmask_b32_e64 v18, v18, v16, s[8:9]
	v_cndmask_b32_e64 v17, v24, v17, s[10:11]
	v_alignbit_b32 v19, v22, v18, v23
	v_cndmask_b32_e32 v12, v20, v12, vcc
	v_cndmask_b32_e64 v19, v19, v22, s[10:11]
	v_bfe_u32 v24, v17, 29, 1
	v_cndmask_b32_e64 v12, v13, v12, s[6:7]
	v_alignbit_b32 v21, v17, v19, 30
	v_sub_u32_e32 v25, 0, v24
	v_cndmask_b32_e64 v12, v16, v12, s[8:9]
	v_xor_b32_e32 v21, v21, v25
	v_alignbit_b32 v13, v18, v12, v23
	v_cndmask_b32_e64 v13, v13, v18, s[10:11]
	v_ffbh_u32_e32 v18, v21
	v_alignbit_b32 v16, v19, v13, 30
	v_min_u32_e32 v18, 32, v18
	v_alignbit_b32 v12, v13, v12, 30
	v_xor_b32_e32 v16, v16, v25
	v_sub_u32_e32 v19, 31, v18
	v_xor_b32_e32 v12, v12, v25
	v_alignbit_b32 v20, v21, v16, v19
	v_alignbit_b32 v12, v16, v12, v19
	;; [unrolled: 1-line block ×3, first 2 shown]
	v_ffbh_u32_e32 v16, v13
	v_min_u32_e32 v16, 32, v16
	v_lshrrev_b32_e32 v22, 29, v17
	v_not_b32_e32 v19, v16
	v_alignbit_b32 v12, v13, v12, v19
	v_lshlrev_b32_e32 v13, 31, v22
	v_or_b32_e32 v19, 0x33000000, v13
	v_add_lshl_u32 v16, v16, v18, 23
	v_lshrrev_b32_e32 v12, 9, v12
	v_sub_u32_e32 v16, v19, v16
	v_or_b32_e32 v13, 0.5, v13
	v_lshlrev_b32_e32 v18, 23, v18
	v_or_b32_e32 v12, v16, v12
	v_lshrrev_b32_e32 v16, 9, v20
	v_sub_u32_e32 v13, v13, v18
	v_or_b32_e32 v13, v16, v13
	s_mov_b32 s6, 0x3fc90fda
	v_mul_f32_e32 v16, 0x3fc90fda, v13
	v_fma_f32 v18, v13, s6, -v16
	v_fmac_f32_e32 v18, 0x33a22168, v13
	v_fmac_f32_e32 v18, 0x3fc90fda, v12
	v_lshrrev_b32_e32 v12, 30, v17
	v_add_f32_e32 v13, v16, v18
	v_add_u32_e32 v12, v24, v12
	s_andn2_saveexec_b64 s[6:7], s[16:17]
	s_cbranch_execnz .LBB12_98
	s_branch .LBB12_99
.LBB12_97:
	s_andn2_saveexec_b64 s[6:7], s[16:17]
	s_cbranch_execz .LBB12_99
.LBB12_98:
	s_mov_b32 s8, 0x3f22f983
	v_mul_f32_e64 v12, |v8|, s8
	v_rndne_f32_e32 v16, v12
	s_mov_b32 s8, 0xbfc90fda
	v_cvt_i32_f32_e32 v12, v16
	v_fma_f32 v13, v16, s8, |v8|
	v_fmac_f32_e32 v13, 0xb3a22168, v16
	v_fmac_f32_e32 v13, 0xa7c234c4, v16
.LBB12_99:
	s_or_b64 exec, exec, s[6:7]
	v_mul_f32_e32 v16, v6, v6
	s_mov_b32 s8, 0x41c80000
	v_div_scale_f32 v17, s[6:7], v16, v16, s8
	v_mov_b32_e32 v25, 0xbf000004
	v_xor_b32_e32 v9, v9, v8
	s_mov_b32 s10, 0x40a00000
	v_rcp_f32_e32 v18, v17
	v_fma_f32 v19, -v17, v18, 1.0
	v_fmac_f32_e32 v18, v19, v18
	v_div_scale_f32 v19, vcc, s8, v16, s8
	v_mul_f32_e32 v20, v19, v18
	v_fma_f32 v21, -v17, v20, v19
	v_fmac_f32_e32 v20, v21, v18
	v_fma_f32 v17, -v17, v20, v19
	v_div_fmas_f32 v17, v17, v18, v20
	v_mov_b32_e32 v18, 0x3da9a586
	v_mov_b32_e32 v19, 0x3daf5e2d
	;; [unrolled: 1-line block ×4, first 2 shown]
	v_div_fixup_f32 v16, v17, v16, s8
	v_mov_b32_e32 v17, 0x3a50e985
	v_fmac_f32_e32 v17, 0, v16
	v_fmac_f32_e32 v18, v16, v17
	v_mov_b32_e32 v17, 0x3f9ea90a
	v_fmac_f32_e32 v17, v16, v18
	v_mov_b32_e32 v18, 0x40ae4fdf
	;; [unrolled: 2-line block ×5, first 2 shown]
	v_fmac_f32_e32 v17, 0, v16
	v_fmac_f32_e32 v19, v16, v17
	v_mov_b32_e32 v17, 0x3fa07396
	v_fmac_f32_e32 v17, v16, v19
	v_mov_b32_e32 v19, 0x40af123f
	;; [unrolled: 2-line block ×4, first 2 shown]
	v_fmac_f32_e32 v19, v16, v17
	v_fma_f32 v17, v16, v19, 1.0
	v_mov_b32_e32 v19, 0xbc3a3a12
	v_fmac_f32_e32 v19, 0, v16
	v_fmac_f32_e32 v20, v16, v19
	v_mov_b32_e32 v19, 0xc19c6e80
	v_fmac_f32_e32 v19, v16, v20
	v_mov_b32_e32 v20, 0xc2ba697b
	;; [unrolled: 2-line block ×7, first 2 shown]
	v_fmac_f32_e32 v19, 0, v16
	v_fmac_f32_e32 v21, v16, v19
	v_mov_b32_e32 v19, 0x4572a66e
	v_fmac_f32_e32 v19, v16, v21
	v_mov_b32_e32 v21, 0x45e243be
	;; [unrolled: 2-line block ×5, first 2 shown]
	v_fmac_f32_e32 v19, v16, v21
	v_fma_f32 v16, v16, v18, 1.0
	v_div_scale_f32 v18, s[6:7], v17, v17, v16
	s_movk_i32 s6, 0x1f8
	v_cmp_class_f32_e64 s[6:7], v8, s6
	v_mov_b32_e32 v8, 0x7fc00000
	v_rcp_f32_e32 v21, v18
	v_fma_f32 v22, -v18, v21, 1.0
	v_fmac_f32_e32 v21, v22, v21
	v_div_scale_f32 v22, vcc, v16, v17, v16
	v_mul_f32_e32 v23, v22, v21
	v_fma_f32 v24, -v18, v23, v22
	v_fmac_f32_e32 v23, v24, v21
	v_fma_f32 v18, -v18, v23, v22
	v_div_fmas_f32 v18, v18, v21, v23
	v_mov_b32_e32 v23, 0xbab64f3b
	v_mov_b32_e32 v21, 0x3c0881c4
	;; [unrolled: 1-line block ×4, first 2 shown]
	v_div_fixup_f32 v16, v18, v17, v16
	v_mul_f32_e32 v17, v15, v15
	v_fmac_f32_e32 v23, 0x37d75334, v17
	v_fmac_f32_e32 v21, 0xb94c1982, v17
	v_fma_f32 v23, v17, v23, v24
	v_fma_f32 v21, v17, v21, v22
	;; [unrolled: 1-line block ×3, first 2 shown]
	v_mul_f32_e32 v21, v17, v21
	v_fma_f32 v17, v17, v23, 1.0
	v_and_b32_e32 v23, 1, v14
	v_lshlrev_b32_e32 v14, 30, v14
	v_and_b32_e32 v14, 0x80000000, v14
	v_xor_b32_e32 v9, v9, v14
	v_div_scale_f32 v14, s[8:9], v6, v6, s10
	v_fmac_f32_e32 v15, v15, v21
	v_cmp_eq_u32_e32 vcc, 0, v23
	v_cndmask_b32_e32 v15, v17, v15, vcc
	v_xor_b32_e32 v9, v9, v15
	v_mov_b32_e32 v18, 0x3c0881c4
	v_mov_b32_e32 v21, 0xbab64f3b
	v_cndmask_b32_e64 v9, v8, v9, s[6:7]
	v_rcp_f32_e32 v15, v14
	v_fma_f32 v17, -v14, v15, 1.0
	v_fmac_f32_e32 v15, v17, v15
	v_div_scale_f32 v17, vcc, s10, v6, s10
	v_mul_f32_e32 v23, v17, v15
	v_fma_f32 v26, -v14, v23, v17
	v_fmac_f32_e32 v23, v26, v15
	v_fma_f32 v14, -v14, v23, v17
	v_div_fmas_f32 v14, v14, v15, v23
	v_div_scale_f32 v15, s[8:9], v19, v19, v20
	v_div_fixup_f32 v14, v14, v6, s10
	v_rcp_f32_e32 v17, v15
	v_fma_f32 v23, -v15, v17, 1.0
	v_fmac_f32_e32 v17, v23, v17
	v_div_scale_f32 v23, vcc, v20, v19, v20
	v_mul_f32_e32 v26, v23, v17
	v_fma_f32 v27, -v15, v26, v23
	v_fmac_f32_e32 v26, v27, v17
	v_fma_f32 v15, -v15, v26, v23
	v_div_fmas_f32 v15, v15, v17, v26
	v_div_fixup_f32 v15, v15, v19, v20
	v_mul_f32_e32 v14, v14, v15
	v_mul_f32_e32 v15, v13, v13
	v_fmac_f32_e32 v18, 0xb94c1982, v15
	v_fmac_f32_e32 v22, v15, v18
	;; [unrolled: 1-line block ×3, first 2 shown]
	v_mul_f32_e32 v17, v15, v22
	v_fmac_f32_e32 v24, v15, v21
	v_fmac_f32_e32 v13, v13, v17
	;; [unrolled: 1-line block ×3, first 2 shown]
	v_and_b32_e32 v17, 1, v12
	v_fma_f32 v15, v15, v25, 1.0
	v_cmp_eq_u32_e32 vcc, 0, v17
	v_lshlrev_b32_e32 v12, 30, v12
	v_cndmask_b32_e64 v13, -v13, v15, vcc
	v_and_b32_e32 v12, 0x80000000, v12
	v_xor_b32_e32 v12, v12, v13
	v_cndmask_b32_e64 v8, v8, v12, s[6:7]
	v_mul_f32_e32 v8, v14, v8
	s_mov_b32 s6, 0xf800000
	v_fmac_f32_e32 v8, v16, v9
	v_cmp_gt_f32_e32 vcc, s6, v6
	v_mul_f32_e32 v9, 0x4f800000, v6
	v_cndmask_b32_e32 v6, v6, v9, vcc
	v_sqrt_f32_e32 v9, v6
	v_mul_f32_e32 v8, 0x3f4c422a, v8
	v_add_u32_e32 v12, -1, v9
	v_fma_f32 v13, -v12, v9, v6
	v_cmp_ge_f32_e64 s[6:7], 0, v13
	v_add_u32_e32 v13, 1, v9
	v_cndmask_b32_e64 v12, v9, v12, s[6:7]
	v_fma_f32 v9, -v13, v9, v6
	v_cmp_lt_f32_e64 s[6:7], 0, v9
	v_cndmask_b32_e64 v9, v12, v13, s[6:7]
	v_mul_f32_e32 v12, 0x37800000, v9
	v_cndmask_b32_e32 v9, v9, v12, vcc
	v_mov_b32_e32 v12, 0x260
	v_cmp_class_f32_e32 vcc, v6, v12
	v_cndmask_b32_e32 v6, v9, v6, vcc
	v_div_scale_f32 v9, s[6:7], v6, v6, v8
	v_rcp_f32_e32 v12, v9
	v_fma_f32 v13, -v9, v12, 1.0
	v_fmac_f32_e32 v12, v13, v12
	v_div_scale_f32 v13, vcc, v8, v6, v8
	v_mul_f32_e32 v14, v13, v12
	v_fma_f32 v15, -v9, v14, v13
	v_fmac_f32_e32 v14, v15, v12
	v_fma_f32 v9, -v9, v14, v13
	v_div_fmas_f32 v9, v9, v12, v14
	v_div_fixup_f32 v9, v9, v6, v8
.LBB12_100:
	s_or_b64 exec, exec, s[14:15]
	s_or_b64 exec, exec, s[12:13]
	s_and_saveexec_b64 s[6:7], s[4:5]
	s_xor_b64 s[4:5], exec, s[6:7]
	s_cbranch_execnz .LBB12_89
.LBB12_101:
	s_or_b64 exec, exec, s[4:5]
	v_cmp_lt_i32_e32 vcc, v7, v4
	s_and_saveexec_b64 s[4:5], vcc
	s_cbranch_execz .LBB12_90
.LBB12_102:
	v_add_u32_e32 v2, s20, v7
	v_mov_b32_e32 v3, 0
	v_lshlrev_b64 v[2:3], 2, v[2:3]
	v_add_u32_e32 v7, 0x100, v7
	v_add_co_u32_e32 v2, vcc, v0, v2
	v_addc_co_u32_e32 v3, vcc, v1, v3, vcc
	flat_store_dword v[2:3], v11
	s_or_b64 exec, exec, s[4:5]
	v_cmp_lt_i32_e32 vcc, v7, v4
	s_and_saveexec_b64 s[4:5], vcc
	s_cbranch_execnz .LBB12_91
.LBB12_103:
	s_or_b64 exec, exec, s[4:5]
	v_cmp_lt_i32_e32 vcc, v7, v4
	s_and_saveexec_b64 s[4:5], vcc
	s_cbranch_execz .LBB12_92
.LBB12_104:
	v_add_u32_e32 v2, s20, v7
	v_mov_b32_e32 v3, 0
	v_lshlrev_b64 v[2:3], 2, v[2:3]
	v_add_co_u32_e32 v0, vcc, v0, v2
	v_addc_co_u32_e32 v1, vcc, v1, v3, vcc
	flat_store_dword v[0:1], v9
	s_or_b64 exec, exec, s[4:5]
	s_waitcnt vmcnt(0) lgkmcnt(0)
	s_setpc_b64 s[30:31]
.Lfunc_end12:
	.size	_ZN2at6native25elementwise_kernel_helperILb0EZZZNS0_12_GLOBAL__N_121bessel_y0_kernel_cudaERNS_18TensorIteratorBaseEENKUlvE_clEvENKUlvE0_clEvEUlfE_NS0_6memory8policies11unroll_baseILi256ESt5arrayIPcLm2EE23TrivialOffsetCalculatorILi1EjESF_NS8_15LoadWithoutCastENS8_16StoreWithoutCastELi4ELi1EEEEEvT0_T1_, .Lfunc_end12-_ZN2at6native25elementwise_kernel_helperILb0EZZZNS0_12_GLOBAL__N_121bessel_y0_kernel_cudaERNS_18TensorIteratorBaseEENKUlvE_clEvENKUlvE0_clEvEUlfE_NS0_6memory8policies11unroll_baseILi256ESt5arrayIPcLm2EE23TrivialOffsetCalculatorILi1EjESF_NS8_15LoadWithoutCastENS8_16StoreWithoutCastELi4ELi1EEEEEvT0_T1_
                                        ; -- End function
	.set .L_ZN2at6native25elementwise_kernel_helperILb0EZZZNS0_12_GLOBAL__N_121bessel_y0_kernel_cudaERNS_18TensorIteratorBaseEENKUlvE_clEvENKUlvE0_clEvEUlfE_NS0_6memory8policies11unroll_baseILi256ESt5arrayIPcLm2EE23TrivialOffsetCalculatorILi1EjESF_NS8_15LoadWithoutCastENS8_16StoreWithoutCastELi4ELi1EEEEEvT0_T1_.num_vgpr, 32
	.set .L_ZN2at6native25elementwise_kernel_helperILb0EZZZNS0_12_GLOBAL__N_121bessel_y0_kernel_cudaERNS_18TensorIteratorBaseEENKUlvE_clEvENKUlvE0_clEvEUlfE_NS0_6memory8policies11unroll_baseILi256ESt5arrayIPcLm2EE23TrivialOffsetCalculatorILi1EjESF_NS8_15LoadWithoutCastENS8_16StoreWithoutCastELi4ELi1EEEEEvT0_T1_.num_agpr, 0
	.set .L_ZN2at6native25elementwise_kernel_helperILb0EZZZNS0_12_GLOBAL__N_121bessel_y0_kernel_cudaERNS_18TensorIteratorBaseEENKUlvE_clEvENKUlvE0_clEvEUlfE_NS0_6memory8policies11unroll_baseILi256ESt5arrayIPcLm2EE23TrivialOffsetCalculatorILi1EjESF_NS8_15LoadWithoutCastENS8_16StoreWithoutCastELi4ELi1EEEEEvT0_T1_.numbered_sgpr, 32
	.set .L_ZN2at6native25elementwise_kernel_helperILb0EZZZNS0_12_GLOBAL__N_121bessel_y0_kernel_cudaERNS_18TensorIteratorBaseEENKUlvE_clEvENKUlvE0_clEvEUlfE_NS0_6memory8policies11unroll_baseILi256ESt5arrayIPcLm2EE23TrivialOffsetCalculatorILi1EjESF_NS8_15LoadWithoutCastENS8_16StoreWithoutCastELi4ELi1EEEEEvT0_T1_.num_named_barrier, 0
	.set .L_ZN2at6native25elementwise_kernel_helperILb0EZZZNS0_12_GLOBAL__N_121bessel_y0_kernel_cudaERNS_18TensorIteratorBaseEENKUlvE_clEvENKUlvE0_clEvEUlfE_NS0_6memory8policies11unroll_baseILi256ESt5arrayIPcLm2EE23TrivialOffsetCalculatorILi1EjESF_NS8_15LoadWithoutCastENS8_16StoreWithoutCastELi4ELi1EEEEEvT0_T1_.private_seg_size, 0
	.set .L_ZN2at6native25elementwise_kernel_helperILb0EZZZNS0_12_GLOBAL__N_121bessel_y0_kernel_cudaERNS_18TensorIteratorBaseEENKUlvE_clEvENKUlvE0_clEvEUlfE_NS0_6memory8policies11unroll_baseILi256ESt5arrayIPcLm2EE23TrivialOffsetCalculatorILi1EjESF_NS8_15LoadWithoutCastENS8_16StoreWithoutCastELi4ELi1EEEEEvT0_T1_.uses_vcc, 1
	.set .L_ZN2at6native25elementwise_kernel_helperILb0EZZZNS0_12_GLOBAL__N_121bessel_y0_kernel_cudaERNS_18TensorIteratorBaseEENKUlvE_clEvENKUlvE0_clEvEUlfE_NS0_6memory8policies11unroll_baseILi256ESt5arrayIPcLm2EE23TrivialOffsetCalculatorILi1EjESF_NS8_15LoadWithoutCastENS8_16StoreWithoutCastELi4ELi1EEEEEvT0_T1_.uses_flat_scratch, 0
	.set .L_ZN2at6native25elementwise_kernel_helperILb0EZZZNS0_12_GLOBAL__N_121bessel_y0_kernel_cudaERNS_18TensorIteratorBaseEENKUlvE_clEvENKUlvE0_clEvEUlfE_NS0_6memory8policies11unroll_baseILi256ESt5arrayIPcLm2EE23TrivialOffsetCalculatorILi1EjESF_NS8_15LoadWithoutCastENS8_16StoreWithoutCastELi4ELi1EEEEEvT0_T1_.has_dyn_sized_stack, 0
	.set .L_ZN2at6native25elementwise_kernel_helperILb0EZZZNS0_12_GLOBAL__N_121bessel_y0_kernel_cudaERNS_18TensorIteratorBaseEENKUlvE_clEvENKUlvE0_clEvEUlfE_NS0_6memory8policies11unroll_baseILi256ESt5arrayIPcLm2EE23TrivialOffsetCalculatorILi1EjESF_NS8_15LoadWithoutCastENS8_16StoreWithoutCastELi4ELi1EEEEEvT0_T1_.has_recursion, 0
	.set .L_ZN2at6native25elementwise_kernel_helperILb0EZZZNS0_12_GLOBAL__N_121bessel_y0_kernel_cudaERNS_18TensorIteratorBaseEENKUlvE_clEvENKUlvE0_clEvEUlfE_NS0_6memory8policies11unroll_baseILi256ESt5arrayIPcLm2EE23TrivialOffsetCalculatorILi1EjESF_NS8_15LoadWithoutCastENS8_16StoreWithoutCastELi4ELi1EEEEEvT0_T1_.has_indirect_call, 0
	.section	.AMDGPU.csdata,"",@progbits
; Function info:
; codeLenInByte = 13680
; TotalNumSgprs: 36
; NumVgprs: 32
; ScratchSize: 0
; MemoryBound: 0
	.text
	.p2align	2                               ; -- Begin function _ZN2at6native25elementwise_kernel_helperILb0EZZZNS0_12_GLOBAL__N_121bessel_y0_kernel_cudaERNS_18TensorIteratorBaseEENKUlvE_clEvENKUlvE0_clEvEUlfE_NS0_6memory8policies10vectorizedILi4ESt5arrayIPcLm2EELi4EEEEEvT0_T1_
	.type	_ZN2at6native25elementwise_kernel_helperILb0EZZZNS0_12_GLOBAL__N_121bessel_y0_kernel_cudaERNS_18TensorIteratorBaseEENKUlvE_clEvENKUlvE0_clEvEUlfE_NS0_6memory8policies10vectorizedILi4ESt5arrayIPcLm2EELi4EEEEEvT0_T1_,@function
_ZN2at6native25elementwise_kernel_helperILb0EZZZNS0_12_GLOBAL__N_121bessel_y0_kernel_cudaERNS_18TensorIteratorBaseEENKUlvE_clEvENKUlvE0_clEvEUlfE_NS0_6memory8policies10vectorizedILi4ESt5arrayIPcLm2EELi4EEEEEvT0_T1_: ; @_ZN2at6native25elementwise_kernel_helperILb0EZZZNS0_12_GLOBAL__N_121bessel_y0_kernel_cudaERNS_18TensorIteratorBaseEENKUlvE_clEvENKUlvE0_clEvEUlfE_NS0_6memory8policies10vectorizedILi4ESt5arrayIPcLm2EELi4EEEEEvT0_T1_
; %bb.0:
	s_waitcnt vmcnt(0) expcnt(0) lgkmcnt(0)
	s_lshl_b32 s4, s12, 10
	s_ashr_i32 s5, s4, 31
	s_lshl_b64 s[10:11], s[4:5], 2
	v_mov_b32_e32 v4, s11
	v_add_co_u32_e32 v2, vcc, s10, v2
	v_addc_co_u32_e32 v3, vcc, v3, v4, vcc
	v_and_b32_e32 v4, 0x3ff, v31
	v_lshlrev_b32_e32 v10, 4, v4
	v_add_co_u32_e32 v2, vcc, v2, v10
	v_addc_co_u32_e32 v3, vcc, 0, v3, vcc
	flat_load_dwordx4 v[2:5], v[2:3]
	s_mov_b32 s4, 0x40a00000
                                        ; implicit-def: $vgpr6
	s_waitcnt vmcnt(0) lgkmcnt(0)
	v_cmp_ge_f32_e32 vcc, s4, v2
	s_and_saveexec_b64 s[4:5], vcc
	s_xor_b64 s[6:7], exec, s[4:5]
	s_cbranch_execz .LBB13_10
; %bb.1:
	v_cmp_neq_f32_e32 vcc, 0, v2
	v_mov_b32_e32 v6, 0xff800000
	s_and_saveexec_b64 s[8:9], vcc
	s_cbranch_execz .LBB13_9
; %bb.2:
	v_cmp_ngt_f32_e32 vcc, 0, v2
	v_mov_b32_e32 v6, 0x7fc00000
	s_and_saveexec_b64 s[12:13], vcc
	s_cbranch_execz .LBB13_8
; %bb.3:
	v_mul_f32_e32 v6, v2, v2
	s_mov_b32 s4, 0x3727c5ac
	v_mul_f32_e32 v8, 0, v6
	v_cmp_ngt_f32_e32 vcc, s4, v2
                                        ; implicit-def: $vgpr7
	s_and_saveexec_b64 s[4:5], vcc
	s_xor_b64 s[4:5], exec, s[4:5]
	s_cbranch_execz .LBB13_5
; %bb.4:
	v_add_f32_e32 v7, 0xcf8ee29d, v8
	v_mov_b32_e32 v9, 0x53e3ba8e
	v_fmac_f32_e32 v9, v6, v7
	v_mov_b32_e32 v7, 0xd762b0a7
	v_fmac_f32_e32 v7, v6, v9
	v_add_f32_e32 v9, 0x43f9c815, v8
	v_mov_b32_e32 v11, 0x4829b65a
	v_fmac_f32_e32 v11, v6, v9
	v_mov_b32_e32 v9, 0x4c38c9a1
	v_fmac_f32_e32 v9, v6, v11
	;; [unrolled: 2-line block ×8, first 2 shown]
	v_add_f32_e32 v7, 0xc0b90fdc, v6
	v_add_f32_e32 v12, 0xc1f3c525, v6
	v_mul_f32_e32 v7, v7, v12
	v_mul_f32_e32 v7, v7, v9
	v_div_scale_f32 v9, s[14:15], v11, v11, v7
	v_div_scale_f32 v12, vcc, v7, v11, v7
	v_rcp_f32_e32 v13, v9
	v_fma_f32 v14, -v9, v13, 1.0
	v_fmac_f32_e32 v13, v14, v13
	v_mul_f32_e32 v14, v12, v13
	v_fma_f32 v15, -v9, v14, v12
	v_fmac_f32_e32 v14, v15, v13
	v_fma_f32 v9, -v9, v14, v12
	v_div_fmas_f32 v9, v9, v13, v14
	v_div_fixup_f32 v7, v9, v11, v7
.LBB13_5:
	s_andn2_saveexec_b64 s[4:5], s[4:5]
; %bb.6:
	s_mov_b32 s14, 0xbe800000
	v_fma_f32 v7, v6, s14, 1.0
; %bb.7:
	s_or_b64 exec, exec, s[4:5]
	v_add_f32_e32 v9, 0x4673a1bf, v8
	v_mov_b32_e32 v11, 0xcb5fc0fa
	v_fmac_f32_e32 v11, v6, v9
	v_mov_b32_e32 v9, 0x4fa1fbc8
	v_fmac_f32_e32 v9, v6, v11
	v_mov_b32_e32 v11, 0xd364abdf
	v_fmac_f32_e32 v11, v6, v9
	v_mov_b32_e32 v9, 0x569f5392
	v_fmac_f32_e32 v9, v6, v11
	v_mov_b32_e32 v11, 0xd945090f
	v_fmac_f32_e32 v11, v6, v9
	v_mov_b32_e32 v9, 0x5b1d4a5b
	v_fmac_f32_e32 v9, v6, v11
	v_add_f32_e32 v8, 0x44822913, v8
	v_mov_b32_e32 v11, 0x4918dbb5
	v_fmac_f32_e32 v11, v6, v8
	v_mov_b32_e32 v8, 0x4d803b1b
	v_fmac_f32_e32 v8, v6, v11
	;; [unrolled: 2-line block ×7, first 2 shown]
	v_div_scale_f32 v6, s[4:5], v8, v8, v11
	v_div_scale_f32 v9, vcc, v11, v8, v11
	s_mov_b32 s4, 0x800000
	v_rcp_f32_e32 v12, v6
	v_fma_f32 v13, -v6, v12, 1.0
	v_fmac_f32_e32 v12, v13, v12
	v_mul_f32_e32 v13, v9, v12
	v_fma_f32 v14, -v6, v13, v9
	v_fmac_f32_e32 v13, v14, v12
	v_fma_f32 v6, -v6, v13, v9
	v_div_fmas_f32 v6, v6, v12, v13
	v_cmp_gt_f32_e32 vcc, s4, v2
	v_cndmask_b32_e64 v9, 0, 32, vcc
	v_ldexp_f32 v9, v2, v9
	v_log_f32_e32 v9, v9
	s_mov_b32 s4, 0x3f317217
	v_mul_f32_e32 v12, 0x3f317217, v9
	v_fma_f32 v12, v9, s4, -v12
	v_fmac_f32_e32 v12, 0x3377d1cf, v9
	s_mov_b32 s4, 0x7f800000
	v_fmac_f32_e32 v12, 0x3f317217, v9
	v_cmp_lt_f32_e64 s[4:5], |v9|, s4
	v_div_fixup_f32 v6, v6, v8, v11
	v_cndmask_b32_e64 v8, v9, v12, s[4:5]
	v_mov_b32_e32 v9, 0x41b17218
	v_cndmask_b32_e32 v9, 0, v9, vcc
	v_sub_f32_e32 v8, v8, v9
	v_mul_f32_e32 v8, 0x3f22f983, v8
	v_fmac_f32_e32 v6, v8, v7
.LBB13_8:
	s_or_b64 exec, exec, s[12:13]
.LBB13_9:
	s_or_b64 exec, exec, s[8:9]
.LBB13_10:
	s_andn2_saveexec_b64 s[12:13], s[6:7]
	s_cbranch_execz .LBB13_20
; %bb.11:
	v_add_f32_e32 v6, 0xbf490fdb, v2
	v_and_b32_e32 v7, 0x7fffffff, v6
	s_brev_b32 s4, 18
	v_cmp_nlt_f32_e64 s[14:15], |v6|, s4
	v_lshrrev_b32_e32 v13, 23, v7
                                        ; implicit-def: $vgpr8
                                        ; implicit-def: $vgpr9
	s_and_saveexec_b64 s[4:5], s[14:15]
	s_xor_b64 s[16:17], exec, s[4:5]
	s_cbranch_execz .LBB13_13
; %bb.12:
	v_and_b32_e32 v8, 0x7fffff, v7
	v_or_b32_e32 v20, 0x800000, v8
	s_mov_b32 s4, 0xfe5163ab
	v_mad_u64_u32 v[8:9], s[4:5], v20, s4, 0
	v_mov_b32_e32 v12, 0
	s_mov_b32 s4, 0x3c439041
	v_mov_b32_e32 v11, v9
	v_mad_u64_u32 v[14:15], s[4:5], v20, s4, v[11:12]
	s_mov_b32 s4, 0xdb629599
	v_add_u32_e32 v9, 0xffffff88, v13
	v_mov_b32_e32 v11, v15
	v_mad_u64_u32 v[15:16], s[4:5], v20, s4, v[11:12]
	s_mov_b32 s4, 0xf534ddc0
	v_not_b32_e32 v19, 63
	v_mov_b32_e32 v11, v16
	v_mad_u64_u32 v[16:17], s[4:5], v20, s4, v[11:12]
	s_mov_b32 s4, 0xfc2757d1
	v_cmp_lt_u32_e32 vcc, 63, v9
	v_mov_b32_e32 v11, v17
	v_mad_u64_u32 v[17:18], s[4:5], v20, s4, v[11:12]
	v_cndmask_b32_e32 v11, 0, v19, vcc
	v_add_u32_e32 v9, v11, v9
	v_mov_b32_e32 v11, v18
	s_mov_b32 s4, 0x4e441529
	v_mad_u64_u32 v[18:19], s[4:5], v20, s4, v[11:12]
	v_not_b32_e32 v21, 31
	v_cmp_lt_u32_e64 s[4:5], 31, v9
	v_cndmask_b32_e64 v11, 0, v21, s[4:5]
	v_add_u32_e32 v9, v11, v9
	v_mov_b32_e32 v11, v19
	s_mov_b32 s6, 0xa2f9836e
	v_mad_u64_u32 v[11:12], s[6:7], v20, s6, v[11:12]
	v_cmp_lt_u32_e64 s[6:7], 31, v9
	v_cndmask_b32_e64 v19, 0, v21, s[6:7]
	v_add_u32_e32 v9, v19, v9
	v_cndmask_b32_e32 v19, v18, v16, vcc
	v_cndmask_b32_e32 v11, v11, v17, vcc
	;; [unrolled: 1-line block ×3, first 2 shown]
	v_cndmask_b32_e64 v20, v11, v19, s[4:5]
	v_cndmask_b32_e64 v11, v12, v11, s[4:5]
	v_cndmask_b32_e32 v12, v17, v15, vcc
	v_cndmask_b32_e64 v17, v19, v12, s[4:5]
	v_sub_u32_e32 v19, 32, v9
	v_cmp_eq_u32_e64 s[8:9], 0, v9
	v_cndmask_b32_e32 v9, v16, v14, vcc
	v_cndmask_b32_e64 v11, v11, v20, s[6:7]
	v_cndmask_b32_e64 v18, v20, v17, s[6:7]
	;; [unrolled: 1-line block ×3, first 2 shown]
	v_alignbit_b32 v20, v11, v18, v19
	v_cndmask_b32_e64 v14, v17, v12, s[6:7]
	v_cndmask_b32_e64 v11, v20, v11, s[8:9]
	v_alignbit_b32 v16, v18, v14, v19
	v_cndmask_b32_e32 v8, v15, v8, vcc
	v_cndmask_b32_e64 v16, v16, v18, s[8:9]
	v_bfe_u32 v20, v11, 29, 1
	v_cndmask_b32_e64 v8, v9, v8, s[4:5]
	v_alignbit_b32 v17, v11, v16, 30
	v_sub_u32_e32 v21, 0, v20
	v_cndmask_b32_e64 v8, v12, v8, s[6:7]
	v_xor_b32_e32 v17, v17, v21
	v_alignbit_b32 v9, v14, v8, v19
	v_cndmask_b32_e64 v9, v9, v14, s[8:9]
	v_ffbh_u32_e32 v14, v17
	v_alignbit_b32 v12, v16, v9, 30
	v_min_u32_e32 v14, 32, v14
	v_alignbit_b32 v8, v9, v8, 30
	v_xor_b32_e32 v12, v12, v21
	v_sub_u32_e32 v15, 31, v14
	v_xor_b32_e32 v8, v8, v21
	v_alignbit_b32 v16, v17, v12, v15
	v_alignbit_b32 v8, v12, v8, v15
	;; [unrolled: 1-line block ×3, first 2 shown]
	v_ffbh_u32_e32 v12, v9
	v_min_u32_e32 v12, 32, v12
	v_lshrrev_b32_e32 v18, 29, v11
	v_not_b32_e32 v15, v12
	v_alignbit_b32 v8, v9, v8, v15
	v_lshlrev_b32_e32 v9, 31, v18
	v_or_b32_e32 v15, 0x33000000, v9
	v_add_lshl_u32 v12, v12, v14, 23
	v_lshrrev_b32_e32 v8, 9, v8
	v_sub_u32_e32 v12, v15, v12
	v_or_b32_e32 v9, 0.5, v9
	v_lshlrev_b32_e32 v14, 23, v14
	v_or_b32_e32 v8, v12, v8
	v_lshrrev_b32_e32 v12, 9, v16
	v_sub_u32_e32 v9, v9, v14
	v_or_b32_e32 v9, v12, v9
	s_mov_b32 s4, 0x3fc90fda
	v_mul_f32_e32 v12, 0x3fc90fda, v9
	v_fma_f32 v14, v9, s4, -v12
	v_fmac_f32_e32 v14, 0x33a22168, v9
	v_fmac_f32_e32 v14, 0x3fc90fda, v8
	v_lshrrev_b32_e32 v8, 30, v11
	v_add_f32_e32 v9, v12, v14
	v_add_u32_e32 v8, v20, v8
	s_andn2_saveexec_b64 s[4:5], s[16:17]
	s_cbranch_execz .LBB13_15
	s_branch .LBB13_14
.LBB13_13:
	s_andn2_saveexec_b64 s[4:5], s[16:17]
	s_cbranch_execz .LBB13_15
.LBB13_14:
	s_mov_b32 s6, 0x3f22f983
	v_mul_f32_e64 v8, |v6|, s6
	v_rndne_f32_e32 v11, v8
	s_mov_b32 s6, 0xbfc90fda
	v_cvt_i32_f32_e32 v8, v11
	v_fma_f32 v9, v11, s6, |v6|
	v_fmac_f32_e32 v9, 0xb3a22168, v11
	v_fmac_f32_e32 v9, 0xa7c234c4, v11
.LBB13_15:
	s_or_b64 exec, exec, s[4:5]
                                        ; implicit-def: $vgpr11
                                        ; implicit-def: $vgpr12
	s_and_saveexec_b64 s[4:5], s[14:15]
	s_xor_b64 s[14:15], exec, s[4:5]
	s_cbranch_execz .LBB13_17
; %bb.16:
	v_and_b32_e32 v11, 0x7fffff, v7
	v_or_b32_e32 v20, 0x800000, v11
	s_mov_b32 s4, 0xfe5163ab
	v_mad_u64_u32 v[11:12], s[4:5], v20, s4, 0
	v_mov_b32_e32 v15, 0
	s_mov_b32 s4, 0x3c439041
	v_mov_b32_e32 v14, v12
	v_mad_u64_u32 v[16:17], s[4:5], v20, s4, v[14:15]
	s_mov_b32 s4, 0xdb629599
	v_add_u32_e32 v21, 0xffffff88, v13
	v_mov_b32_e32 v14, v17
	v_mad_u64_u32 v[17:18], s[4:5], v20, s4, v[14:15]
	s_mov_b32 s4, 0xf534ddc0
	v_not_b32_e32 v22, 63
	v_mov_b32_e32 v14, v18
	v_mad_u64_u32 v[18:19], s[4:5], v20, s4, v[14:15]
	s_mov_b32 s4, 0xfc2757d1
	v_cmp_lt_u32_e32 vcc, 63, v21
	v_mov_b32_e32 v14, v19
	v_mad_u64_u32 v[12:13], s[4:5], v20, s4, v[14:15]
	v_cndmask_b32_e32 v14, 0, v22, vcc
	v_add_u32_e32 v19, v14, v21
	v_mov_b32_e32 v14, v13
	s_mov_b32 s4, 0x4e441529
	v_mad_u64_u32 v[13:14], s[4:5], v20, s4, v[14:15]
	v_not_b32_e32 v21, 31
	v_cmp_lt_u32_e64 s[4:5], 31, v19
	s_mov_b32 s6, 0xa2f9836e
	v_cndmask_b32_e64 v22, 0, v21, s[4:5]
	v_mad_u64_u32 v[14:15], s[6:7], v20, s6, v[14:15]
	v_add_u32_e32 v19, v22, v19
	v_cmp_lt_u32_e64 s[6:7], 31, v19
	v_cndmask_b32_e64 v20, 0, v21, s[6:7]
	v_add_u32_e32 v19, v20, v19
	v_cndmask_b32_e32 v20, v13, v18, vcc
	v_cndmask_b32_e32 v14, v14, v12, vcc
	;; [unrolled: 1-line block ×4, first 2 shown]
	v_cndmask_b32_e64 v21, v14, v20, s[4:5]
	v_cndmask_b32_e64 v13, v13, v14, s[4:5]
	;; [unrolled: 1-line block ×3, first 2 shown]
	v_cndmask_b32_e32 v16, v18, v16, vcc
	v_cndmask_b32_e64 v13, v13, v21, s[6:7]
	v_cndmask_b32_e64 v15, v21, v14, s[6:7]
	v_sub_u32_e32 v20, 32, v19
	v_cndmask_b32_e64 v12, v12, v16, s[4:5]
	v_alignbit_b32 v21, v13, v15, v20
	v_cmp_eq_u32_e64 s[8:9], 0, v19
	v_cndmask_b32_e64 v14, v14, v12, s[6:7]
	v_cndmask_b32_e32 v11, v17, v11, vcc
	v_cndmask_b32_e64 v13, v21, v13, s[8:9]
	v_alignbit_b32 v18, v15, v14, v20
	v_cndmask_b32_e64 v11, v16, v11, s[4:5]
	v_cndmask_b32_e64 v15, v18, v15, s[8:9]
	v_bfe_u32 v21, v13, 29, 1
	v_cndmask_b32_e64 v11, v12, v11, s[6:7]
	v_alignbit_b32 v18, v13, v15, 30
	v_sub_u32_e32 v22, 0, v21
	v_alignbit_b32 v12, v14, v11, v20
	v_xor_b32_e32 v18, v18, v22
	v_cndmask_b32_e64 v12, v12, v14, s[8:9]
	v_alignbit_b32 v14, v15, v12, 30
	v_ffbh_u32_e32 v15, v18
	v_min_u32_e32 v15, 32, v15
	v_alignbit_b32 v11, v12, v11, 30
	v_xor_b32_e32 v14, v14, v22
	v_sub_u32_e32 v16, 31, v15
	v_xor_b32_e32 v11, v11, v22
	v_alignbit_b32 v17, v18, v14, v16
	v_alignbit_b32 v11, v14, v11, v16
	;; [unrolled: 1-line block ×3, first 2 shown]
	v_ffbh_u32_e32 v14, v12
	v_min_u32_e32 v14, 32, v14
	v_lshrrev_b32_e32 v19, 29, v13
	v_not_b32_e32 v16, v14
	v_alignbit_b32 v11, v12, v11, v16
	v_lshlrev_b32_e32 v12, 31, v19
	v_or_b32_e32 v16, 0x33000000, v12
	v_add_lshl_u32 v14, v14, v15, 23
	v_lshrrev_b32_e32 v11, 9, v11
	v_sub_u32_e32 v14, v16, v14
	v_or_b32_e32 v12, 0.5, v12
	v_lshlrev_b32_e32 v15, 23, v15
	v_or_b32_e32 v11, v14, v11
	v_lshrrev_b32_e32 v14, 9, v17
	v_sub_u32_e32 v12, v12, v15
	v_or_b32_e32 v12, v14, v12
	s_mov_b32 s4, 0x3fc90fda
	v_mul_f32_e32 v14, 0x3fc90fda, v12
	v_fma_f32 v15, v12, s4, -v14
	v_fmac_f32_e32 v15, 0x33a22168, v12
	v_fmac_f32_e32 v15, 0x3fc90fda, v11
	v_lshrrev_b32_e32 v11, 30, v13
	v_add_f32_e32 v12, v14, v15
	v_add_u32_e32 v11, v21, v11
	s_andn2_saveexec_b64 s[4:5], s[14:15]
	s_cbranch_execnz .LBB13_18
	s_branch .LBB13_19
.LBB13_17:
	s_andn2_saveexec_b64 s[4:5], s[14:15]
	s_cbranch_execz .LBB13_19
.LBB13_18:
	s_mov_b32 s6, 0x3f22f983
	v_mul_f32_e64 v11, |v6|, s6
	v_rndne_f32_e32 v13, v11
	s_mov_b32 s6, 0xbfc90fda
	v_cvt_i32_f32_e32 v11, v13
	v_fma_f32 v12, v13, s6, |v6|
	v_fmac_f32_e32 v12, 0xb3a22168, v13
	v_fmac_f32_e32 v12, 0xa7c234c4, v13
.LBB13_19:
	s_or_b64 exec, exec, s[4:5]
	v_mul_f32_e32 v13, v2, v2
	s_mov_b32 s6, 0x41c80000
	v_div_scale_f32 v14, s[4:5], v13, v13, s6
	v_div_scale_f32 v15, vcc, s6, v13, s6
	v_mov_b32_e32 v21, 0x3a725406
	v_mov_b32_e32 v22, 0x3daf5e2d
	;; [unrolled: 1-line block ×4, first 2 shown]
	v_xor_b32_e32 v7, v7, v6
	v_rcp_f32_e32 v16, v14
	v_fma_f32 v17, -v14, v16, 1.0
	v_fmac_f32_e32 v16, v17, v16
	v_mul_f32_e32 v17, v15, v16
	v_fma_f32 v18, -v14, v17, v15
	v_fmac_f32_e32 v17, v18, v16
	v_fma_f32 v14, -v14, v17, v15
	v_div_fmas_f32 v14, v14, v16, v17
	v_mov_b32_e32 v15, 0x3a50e985
	v_mov_b32_e32 v16, 0x3da9a586
	;; [unrolled: 1-line block ×4, first 2 shown]
	v_div_fixup_f32 v13, v14, v13, s6
	v_fmac_f32_e32 v15, 0, v13
	v_fmac_f32_e32 v21, 0, v13
	v_mov_b32_e32 v14, 0x3fa07396
	v_fmac_f32_e32 v16, v13, v15
	v_fmac_f32_e32 v22, v13, v21
	v_mov_b32_e32 v15, 0x40af123f
	v_fmac_f32_e32 v17, v13, v16
	v_fmac_f32_e32 v14, v13, v22
	v_mov_b32_e32 v21, 0x410c30c7
	v_fmac_f32_e32 v18, v13, v17
	v_fmac_f32_e32 v15, v13, v14
	v_mov_b32_e32 v16, 0x40a9cb2f
	v_fmac_f32_e32 v19, v13, v18
	v_fmac_f32_e32 v21, v13, v15
	;; [unrolled: 1-line block ×4, first 2 shown]
	v_fma_f32 v14, v13, v16, 1.0
	v_fma_f32 v15, v13, v20, 1.0
	v_div_scale_f32 v16, s[4:5], v14, v14, v15
	v_div_scale_f32 v17, vcc, v15, v14, v15
	v_mov_b32_e32 v19, 0xbc3a3a12
	v_mov_b32_e32 v20, 0xbfa429da
	v_fmac_f32_e32 v19, 0, v13
	v_fmac_f32_e32 v20, v13, v19
	v_mov_b32_e32 v19, 0x44561b86
	s_mov_b32 s6, 0x40a00000
	v_rcp_f32_e32 v18, v16
	v_fma_f32 v21, -v16, v18, 1.0
	v_fmac_f32_e32 v18, v21, v18
	v_mul_f32_e32 v21, v17, v18
	v_fma_f32 v22, -v16, v21, v17
	v_fmac_f32_e32 v21, v22, v18
	v_fma_f32 v16, -v16, v21, v17
	v_div_fmas_f32 v16, v16, v18, v21
	v_mov_b32_e32 v21, 0x4280a2ba
	v_mov_b32_e32 v22, 0xc19c6e80
	v_fmac_f32_e32 v21, 0, v13
	v_fmac_f32_e32 v19, v13, v21
	;; [unrolled: 1-line block ×3, first 2 shown]
	v_mov_b32_e32 v20, 0x4572a66e
	v_fmac_f32_e32 v20, v13, v19
	v_div_scale_f32 v19, s[4:5], v2, v2, s6
	v_mov_b32_e32 v17, 0xc2ba697b
	v_mov_b32_e32 v18, 0xc331ae61
	v_fmac_f32_e32 v17, v13, v22
	v_mov_b32_e32 v22, 0x45e243be
	v_mov_b32_e32 v21, 0xc31313d7
	v_fmac_f32_e32 v22, v13, v20
	v_mov_b32_e32 v20, 0x45b955d1
	v_fmac_f32_e32 v18, v13, v17
	v_div_scale_f32 v17, vcc, s6, v2, s6
	v_fmac_f32_e32 v20, v13, v22
	v_mov_b32_e32 v22, 0xc24da463
	v_fmac_f32_e32 v21, v13, v18
	v_mov_b32_e32 v18, 0x4500e17e
	v_fmac_f32_e32 v18, v13, v20
	v_mov_b32_e32 v20, 0xc0c19ac7
	v_fmac_f32_e32 v22, v13, v21
	v_mov_b32_e32 v21, 0x43720178
	v_fmac_f32_e32 v21, v13, v18
	v_fmac_f32_e32 v20, v13, v22
	v_div_scale_f32 v13, s[4:5], v21, v21, v20
	v_rcp_f32_e32 v18, v19
	v_div_fixup_f32 v14, v16, v14, v15
	v_div_scale_f32 v16, s[4:5], v20, v21, v20
	v_fma_f32 v15, -v19, v18, 1.0
	v_fmac_f32_e32 v18, v15, v18
	v_mul_f32_e32 v15, v17, v18
	v_fma_f32 v22, -v19, v15, v17
	v_fmac_f32_e32 v15, v22, v18
	v_fma_f32 v17, -v19, v15, v17
	v_mul_f32_e32 v22, v9, v9
	v_mov_b32_e32 v19, 0x3c0881c4
	v_div_fmas_f32 v15, v17, v18, v15
	v_fmac_f32_e32 v19, 0xb94c1982, v22
	v_rcp_f32_e32 v18, v13
	v_mov_b32_e32 v17, 0xbe2aaa9d
	v_fma_f32 v19, v22, v19, v17
	v_mul_f32_e32 v19, v22, v19
	v_fmac_f32_e32 v9, v9, v19
	v_fma_f32 v19, -v13, v18, 1.0
	v_fmac_f32_e32 v18, v19, v18
	v_mul_f32_e32 v19, v16, v18
	v_fma_f32 v23, -v13, v19, v16
	v_fmac_f32_e32 v19, v23, v18
	v_fma_f32 v13, -v13, v19, v16
	s_mov_b64 vcc, s[4:5]
	v_div_fmas_f32 v13, v13, v18, v19
	v_mov_b32_e32 v16, 0xbab64f3b
	v_fmac_f32_e32 v16, 0x37d75334, v22
	v_mov_b32_e32 v18, 0x3d2aabf7
	v_fma_f32 v16, v22, v16, v18
	v_mov_b32_e32 v19, 0xbf000004
	v_fma_f32 v16, v22, v16, v19
	v_fma_f32 v16, v22, v16, 1.0
	v_and_b32_e32 v22, 1, v8
	v_lshlrev_b32_e32 v8, 30, v8
	v_cmp_eq_u32_e32 vcc, 0, v22
	v_and_b32_e32 v8, 0x80000000, v8
	v_cndmask_b32_e32 v9, v16, v9, vcc
	v_xor_b32_e32 v7, v7, v8
	s_movk_i32 s4, 0x1f8
	v_xor_b32_e32 v7, v7, v9
	v_mov_b32_e32 v8, 0x7fc00000
	v_cmp_class_f32_e64 vcc, v6, s4
	v_cndmask_b32_e32 v6, v8, v7, vcc
	v_div_fixup_f32 v7, v15, v2, s6
	v_div_fixup_f32 v9, v13, v21, v20
	v_mov_b32_e32 v22, 0x3c0881c4
	v_mul_f32_e32 v7, v7, v9
	v_mul_f32_e32 v9, v12, v12
	v_mov_b32_e32 v16, 0xbab64f3b
	v_fmac_f32_e32 v22, 0xb94c1982, v9
	v_fmac_f32_e32 v17, v9, v22
	;; [unrolled: 1-line block ×3, first 2 shown]
	v_mul_f32_e32 v13, v9, v17
	v_fmac_f32_e32 v18, v9, v16
	v_fmac_f32_e32 v12, v12, v13
	;; [unrolled: 1-line block ×3, first 2 shown]
	v_and_b32_e32 v13, 1, v11
	v_fma_f32 v9, v9, v19, 1.0
	v_cmp_eq_u32_e64 s[4:5], 0, v13
	v_lshlrev_b32_e32 v11, 30, v11
	v_cndmask_b32_e64 v9, -v12, v9, s[4:5]
	v_and_b32_e32 v11, 0x80000000, v11
	v_xor_b32_e32 v9, v11, v9
	s_mov_b32 s4, 0xf800000
	v_cndmask_b32_e32 v8, v8, v9, vcc
	v_mul_f32_e32 v9, 0x4f800000, v2
	v_cmp_gt_f32_e32 vcc, s4, v2
	v_cndmask_b32_e32 v2, v2, v9, vcc
	v_sqrt_f32_e32 v9, v2
	v_mul_f32_e32 v7, v7, v8
	v_fmac_f32_e32 v7, v14, v6
	v_mul_f32_e32 v6, 0x3f4c422a, v7
	v_add_u32_e32 v7, -1, v9
	v_fma_f32 v8, -v7, v9, v2
	v_cmp_ge_f32_e64 s[4:5], 0, v8
	v_add_u32_e32 v8, 1, v9
	v_cndmask_b32_e64 v7, v9, v7, s[4:5]
	v_fma_f32 v9, -v8, v9, v2
	v_cmp_lt_f32_e64 s[4:5], 0, v9
	v_cndmask_b32_e64 v7, v7, v8, s[4:5]
	v_mul_f32_e32 v8, 0x37800000, v7
	v_cndmask_b32_e32 v7, v7, v8, vcc
	v_mov_b32_e32 v8, 0x260
	v_cmp_class_f32_e32 vcc, v2, v8
	v_cndmask_b32_e32 v2, v7, v2, vcc
	v_div_scale_f32 v7, s[4:5], v2, v2, v6
	v_div_scale_f32 v8, vcc, v6, v2, v6
	v_rcp_f32_e32 v9, v7
	v_fma_f32 v11, -v7, v9, 1.0
	v_fmac_f32_e32 v9, v11, v9
	v_mul_f32_e32 v11, v8, v9
	v_fma_f32 v12, -v7, v11, v8
	v_fmac_f32_e32 v11, v12, v9
	v_fma_f32 v7, -v7, v11, v8
	v_div_fmas_f32 v7, v7, v9, v11
	v_div_fixup_f32 v6, v7, v2, v6
.LBB13_20:
	s_or_b64 exec, exec, s[12:13]
	s_mov_b32 s4, 0x40a00000
	v_cmp_ge_f32_e32 vcc, s4, v3
	s_and_saveexec_b64 s[4:5], vcc
	s_xor_b64 s[6:7], exec, s[4:5]
	s_cbranch_execz .LBB13_30
; %bb.21:
	v_cmp_neq_f32_e32 vcc, 0, v3
	v_mov_b32_e32 v7, 0xff800000
	s_and_saveexec_b64 s[8:9], vcc
	s_cbranch_execz .LBB13_29
; %bb.22:
	v_cmp_ngt_f32_e32 vcc, 0, v3
	v_mov_b32_e32 v7, 0x7fc00000
	s_and_saveexec_b64 s[12:13], vcc
	s_cbranch_execz .LBB13_28
; %bb.23:
	v_mul_f32_e32 v2, v3, v3
	s_mov_b32 s4, 0x3727c5ac
	v_mul_f32_e32 v7, 0, v2
	v_cmp_ngt_f32_e32 vcc, s4, v3
                                        ; implicit-def: $vgpr8
	s_and_saveexec_b64 s[4:5], vcc
	s_xor_b64 s[4:5], exec, s[4:5]
	s_cbranch_execz .LBB13_25
; %bb.24:
	v_add_f32_e32 v8, 0xcf8ee29d, v7
	v_mov_b32_e32 v9, 0x53e3ba8e
	v_fmac_f32_e32 v9, v2, v8
	v_mov_b32_e32 v8, 0xd762b0a7
	v_fmac_f32_e32 v8, v2, v9
	v_add_f32_e32 v9, 0x43f9c815, v7
	v_mov_b32_e32 v11, 0x4829b65a
	v_fmac_f32_e32 v11, v2, v9
	v_mov_b32_e32 v9, 0x4c38c9a1
	v_fmac_f32_e32 v9, v2, v11
	v_mov_b32_e32 v11, 0x5026ad80
	v_fmac_f32_e32 v11, v2, v9
	v_mov_b32_e32 v9, 0x53f5f59c
	v_fmac_f32_e32 v9, v2, v11
	v_mov_b32_e32 v11, 0x578d3514
	v_fmac_f32_e32 v11, v2, v9
	v_mov_b32_e32 v9, 0x5ae20a0c
	v_fmac_f32_e32 v9, v2, v11
	v_mov_b32_e32 v11, 0x5dbdf1a6
	v_fmac_f32_e32 v11, v2, v9
	v_mov_b32_e32 v9, 0x5a09f7c3
	v_fmac_f32_e32 v9, v2, v8
	v_add_f32_e32 v8, 0xc0b90fdc, v2
	v_add_f32_e32 v12, 0xc1f3c525, v2
	v_mul_f32_e32 v8, v8, v12
	v_mul_f32_e32 v8, v8, v9
	v_div_scale_f32 v9, s[14:15], v11, v11, v8
	v_div_scale_f32 v12, vcc, v8, v11, v8
	v_rcp_f32_e32 v13, v9
	v_fma_f32 v14, -v9, v13, 1.0
	v_fmac_f32_e32 v13, v14, v13
	v_mul_f32_e32 v14, v12, v13
	v_fma_f32 v15, -v9, v14, v12
	v_fmac_f32_e32 v14, v15, v13
	v_fma_f32 v9, -v9, v14, v12
	v_div_fmas_f32 v9, v9, v13, v14
	v_div_fixup_f32 v8, v9, v11, v8
.LBB13_25:
	s_andn2_saveexec_b64 s[4:5], s[4:5]
; %bb.26:
	s_mov_b32 s14, 0xbe800000
	v_fma_f32 v8, v2, s14, 1.0
; %bb.27:
	s_or_b64 exec, exec, s[4:5]
	v_add_f32_e32 v9, 0x4673a1bf, v7
	v_mov_b32_e32 v11, 0xcb5fc0fa
	v_fmac_f32_e32 v11, v2, v9
	v_mov_b32_e32 v9, 0x4fa1fbc8
	v_fmac_f32_e32 v9, v2, v11
	;; [unrolled: 2-line block ×6, first 2 shown]
	v_add_f32_e32 v7, 0x44822913, v7
	v_mov_b32_e32 v11, 0x4918dbb5
	v_fmac_f32_e32 v11, v2, v7
	v_mov_b32_e32 v7, 0x4d803b1b
	v_fmac_f32_e32 v7, v2, v11
	;; [unrolled: 2-line block ×7, first 2 shown]
	v_div_scale_f32 v2, s[4:5], v7, v7, v11
	v_div_scale_f32 v9, vcc, v11, v7, v11
	s_mov_b32 s4, 0x800000
	v_rcp_f32_e32 v12, v2
	v_fma_f32 v13, -v2, v12, 1.0
	v_fmac_f32_e32 v12, v13, v12
	v_mul_f32_e32 v13, v9, v12
	v_fma_f32 v14, -v2, v13, v9
	v_fmac_f32_e32 v13, v14, v12
	v_fma_f32 v2, -v2, v13, v9
	v_div_fmas_f32 v2, v2, v12, v13
	v_cmp_gt_f32_e32 vcc, s4, v3
	v_cndmask_b32_e64 v9, 0, 32, vcc
	v_ldexp_f32 v9, v3, v9
	v_log_f32_e32 v9, v9
	s_mov_b32 s4, 0x3f317217
	v_mul_f32_e32 v12, 0x3f317217, v9
	v_fma_f32 v12, v9, s4, -v12
	v_fmac_f32_e32 v12, 0x3377d1cf, v9
	s_mov_b32 s4, 0x7f800000
	v_fmac_f32_e32 v12, 0x3f317217, v9
	v_cmp_lt_f32_e64 s[4:5], |v9|, s4
	v_div_fixup_f32 v7, v2, v7, v11
	v_cndmask_b32_e64 v2, v9, v12, s[4:5]
	v_mov_b32_e32 v9, 0x41b17218
	v_cndmask_b32_e32 v9, 0, v9, vcc
	v_sub_f32_e32 v2, v2, v9
	v_mul_f32_e32 v2, 0x3f22f983, v2
	v_fmac_f32_e32 v7, v2, v8
.LBB13_28:
	s_or_b64 exec, exec, s[12:13]
.LBB13_29:
	s_or_b64 exec, exec, s[8:9]
.LBB13_30:
	s_andn2_saveexec_b64 s[12:13], s[6:7]
	s_cbranch_execz .LBB13_40
; %bb.31:
	v_add_f32_e32 v2, 0xbf490fdb, v3
	v_and_b32_e32 v7, 0x7fffffff, v2
	s_brev_b32 s4, 18
	v_cmp_nlt_f32_e64 s[14:15], |v2|, s4
	v_lshrrev_b32_e32 v13, 23, v7
                                        ; implicit-def: $vgpr8
                                        ; implicit-def: $vgpr9
	s_and_saveexec_b64 s[4:5], s[14:15]
	s_xor_b64 s[16:17], exec, s[4:5]
	s_cbranch_execz .LBB13_33
; %bb.32:
	v_and_b32_e32 v8, 0x7fffff, v7
	v_or_b32_e32 v20, 0x800000, v8
	s_mov_b32 s4, 0xfe5163ab
	v_mad_u64_u32 v[8:9], s[4:5], v20, s4, 0
	v_mov_b32_e32 v12, 0
	s_mov_b32 s4, 0x3c439041
	v_mov_b32_e32 v11, v9
	v_mad_u64_u32 v[14:15], s[4:5], v20, s4, v[11:12]
	s_mov_b32 s4, 0xdb629599
	v_add_u32_e32 v9, 0xffffff88, v13
	v_mov_b32_e32 v11, v15
	v_mad_u64_u32 v[15:16], s[4:5], v20, s4, v[11:12]
	s_mov_b32 s4, 0xf534ddc0
	v_not_b32_e32 v19, 63
	v_mov_b32_e32 v11, v16
	v_mad_u64_u32 v[16:17], s[4:5], v20, s4, v[11:12]
	s_mov_b32 s4, 0xfc2757d1
	v_cmp_lt_u32_e32 vcc, 63, v9
	v_mov_b32_e32 v11, v17
	v_mad_u64_u32 v[17:18], s[4:5], v20, s4, v[11:12]
	v_cndmask_b32_e32 v11, 0, v19, vcc
	v_add_u32_e32 v9, v11, v9
	v_mov_b32_e32 v11, v18
	s_mov_b32 s4, 0x4e441529
	v_mad_u64_u32 v[18:19], s[4:5], v20, s4, v[11:12]
	v_not_b32_e32 v21, 31
	v_cmp_lt_u32_e64 s[4:5], 31, v9
	v_cndmask_b32_e64 v11, 0, v21, s[4:5]
	v_add_u32_e32 v9, v11, v9
	v_mov_b32_e32 v11, v19
	s_mov_b32 s6, 0xa2f9836e
	v_mad_u64_u32 v[11:12], s[6:7], v20, s6, v[11:12]
	v_cmp_lt_u32_e64 s[6:7], 31, v9
	v_cndmask_b32_e64 v19, 0, v21, s[6:7]
	v_add_u32_e32 v9, v19, v9
	v_cndmask_b32_e32 v19, v18, v16, vcc
	v_cndmask_b32_e32 v11, v11, v17, vcc
	;; [unrolled: 1-line block ×3, first 2 shown]
	v_cndmask_b32_e64 v20, v11, v19, s[4:5]
	v_cndmask_b32_e64 v11, v12, v11, s[4:5]
	v_cndmask_b32_e32 v12, v17, v15, vcc
	v_cndmask_b32_e64 v17, v19, v12, s[4:5]
	v_sub_u32_e32 v19, 32, v9
	v_cmp_eq_u32_e64 s[8:9], 0, v9
	v_cndmask_b32_e32 v9, v16, v14, vcc
	v_cndmask_b32_e64 v11, v11, v20, s[6:7]
	v_cndmask_b32_e64 v18, v20, v17, s[6:7]
	;; [unrolled: 1-line block ×3, first 2 shown]
	v_alignbit_b32 v20, v11, v18, v19
	v_cndmask_b32_e64 v14, v17, v12, s[6:7]
	v_cndmask_b32_e64 v11, v20, v11, s[8:9]
	v_alignbit_b32 v16, v18, v14, v19
	v_cndmask_b32_e32 v8, v15, v8, vcc
	v_cndmask_b32_e64 v16, v16, v18, s[8:9]
	v_bfe_u32 v20, v11, 29, 1
	v_cndmask_b32_e64 v8, v9, v8, s[4:5]
	v_alignbit_b32 v17, v11, v16, 30
	v_sub_u32_e32 v21, 0, v20
	v_cndmask_b32_e64 v8, v12, v8, s[6:7]
	v_xor_b32_e32 v17, v17, v21
	v_alignbit_b32 v9, v14, v8, v19
	v_cndmask_b32_e64 v9, v9, v14, s[8:9]
	v_ffbh_u32_e32 v14, v17
	v_alignbit_b32 v12, v16, v9, 30
	v_min_u32_e32 v14, 32, v14
	v_alignbit_b32 v8, v9, v8, 30
	v_xor_b32_e32 v12, v12, v21
	v_sub_u32_e32 v15, 31, v14
	v_xor_b32_e32 v8, v8, v21
	v_alignbit_b32 v16, v17, v12, v15
	v_alignbit_b32 v8, v12, v8, v15
	;; [unrolled: 1-line block ×3, first 2 shown]
	v_ffbh_u32_e32 v12, v9
	v_min_u32_e32 v12, 32, v12
	v_lshrrev_b32_e32 v18, 29, v11
	v_not_b32_e32 v15, v12
	v_alignbit_b32 v8, v9, v8, v15
	v_lshlrev_b32_e32 v9, 31, v18
	v_or_b32_e32 v15, 0x33000000, v9
	v_add_lshl_u32 v12, v12, v14, 23
	v_lshrrev_b32_e32 v8, 9, v8
	v_sub_u32_e32 v12, v15, v12
	v_or_b32_e32 v9, 0.5, v9
	v_lshlrev_b32_e32 v14, 23, v14
	v_or_b32_e32 v8, v12, v8
	v_lshrrev_b32_e32 v12, 9, v16
	v_sub_u32_e32 v9, v9, v14
	v_or_b32_e32 v9, v12, v9
	s_mov_b32 s4, 0x3fc90fda
	v_mul_f32_e32 v12, 0x3fc90fda, v9
	v_fma_f32 v14, v9, s4, -v12
	v_fmac_f32_e32 v14, 0x33a22168, v9
	v_fmac_f32_e32 v14, 0x3fc90fda, v8
	v_lshrrev_b32_e32 v8, 30, v11
	v_add_f32_e32 v9, v12, v14
	v_add_u32_e32 v8, v20, v8
	s_andn2_saveexec_b64 s[4:5], s[16:17]
	s_cbranch_execz .LBB13_35
	s_branch .LBB13_34
.LBB13_33:
	s_andn2_saveexec_b64 s[4:5], s[16:17]
	s_cbranch_execz .LBB13_35
.LBB13_34:
	s_mov_b32 s6, 0x3f22f983
	v_mul_f32_e64 v8, |v2|, s6
	v_rndne_f32_e32 v11, v8
	s_mov_b32 s6, 0xbfc90fda
	v_cvt_i32_f32_e32 v8, v11
	v_fma_f32 v9, v11, s6, |v2|
	v_fmac_f32_e32 v9, 0xb3a22168, v11
	v_fmac_f32_e32 v9, 0xa7c234c4, v11
.LBB13_35:
	s_or_b64 exec, exec, s[4:5]
                                        ; implicit-def: $vgpr11
                                        ; implicit-def: $vgpr12
	s_and_saveexec_b64 s[4:5], s[14:15]
	s_xor_b64 s[14:15], exec, s[4:5]
	s_cbranch_execz .LBB13_37
; %bb.36:
	v_and_b32_e32 v11, 0x7fffff, v7
	v_or_b32_e32 v20, 0x800000, v11
	s_mov_b32 s4, 0xfe5163ab
	v_mad_u64_u32 v[11:12], s[4:5], v20, s4, 0
	v_mov_b32_e32 v15, 0
	s_mov_b32 s4, 0x3c439041
	v_mov_b32_e32 v14, v12
	v_mad_u64_u32 v[16:17], s[4:5], v20, s4, v[14:15]
	s_mov_b32 s4, 0xdb629599
	v_add_u32_e32 v21, 0xffffff88, v13
	v_mov_b32_e32 v14, v17
	v_mad_u64_u32 v[17:18], s[4:5], v20, s4, v[14:15]
	s_mov_b32 s4, 0xf534ddc0
	v_not_b32_e32 v22, 63
	v_mov_b32_e32 v14, v18
	v_mad_u64_u32 v[18:19], s[4:5], v20, s4, v[14:15]
	s_mov_b32 s4, 0xfc2757d1
	v_cmp_lt_u32_e32 vcc, 63, v21
	v_mov_b32_e32 v14, v19
	v_mad_u64_u32 v[12:13], s[4:5], v20, s4, v[14:15]
	v_cndmask_b32_e32 v14, 0, v22, vcc
	v_add_u32_e32 v19, v14, v21
	v_mov_b32_e32 v14, v13
	s_mov_b32 s4, 0x4e441529
	v_mad_u64_u32 v[13:14], s[4:5], v20, s4, v[14:15]
	v_not_b32_e32 v21, 31
	v_cmp_lt_u32_e64 s[4:5], 31, v19
	s_mov_b32 s6, 0xa2f9836e
	v_cndmask_b32_e64 v22, 0, v21, s[4:5]
	v_mad_u64_u32 v[14:15], s[6:7], v20, s6, v[14:15]
	v_add_u32_e32 v19, v22, v19
	v_cmp_lt_u32_e64 s[6:7], 31, v19
	v_cndmask_b32_e64 v20, 0, v21, s[6:7]
	v_add_u32_e32 v19, v20, v19
	v_cndmask_b32_e32 v20, v13, v18, vcc
	v_cndmask_b32_e32 v14, v14, v12, vcc
	;; [unrolled: 1-line block ×4, first 2 shown]
	v_cndmask_b32_e64 v21, v14, v20, s[4:5]
	v_cndmask_b32_e64 v13, v13, v14, s[4:5]
	;; [unrolled: 1-line block ×3, first 2 shown]
	v_cndmask_b32_e32 v16, v18, v16, vcc
	v_cndmask_b32_e64 v13, v13, v21, s[6:7]
	v_cndmask_b32_e64 v15, v21, v14, s[6:7]
	v_sub_u32_e32 v20, 32, v19
	v_cndmask_b32_e64 v12, v12, v16, s[4:5]
	v_alignbit_b32 v21, v13, v15, v20
	v_cmp_eq_u32_e64 s[8:9], 0, v19
	v_cndmask_b32_e64 v14, v14, v12, s[6:7]
	v_cndmask_b32_e32 v11, v17, v11, vcc
	v_cndmask_b32_e64 v13, v21, v13, s[8:9]
	v_alignbit_b32 v18, v15, v14, v20
	v_cndmask_b32_e64 v11, v16, v11, s[4:5]
	v_cndmask_b32_e64 v15, v18, v15, s[8:9]
	v_bfe_u32 v21, v13, 29, 1
	v_cndmask_b32_e64 v11, v12, v11, s[6:7]
	v_alignbit_b32 v18, v13, v15, 30
	v_sub_u32_e32 v22, 0, v21
	v_alignbit_b32 v12, v14, v11, v20
	v_xor_b32_e32 v18, v18, v22
	v_cndmask_b32_e64 v12, v12, v14, s[8:9]
	v_alignbit_b32 v14, v15, v12, 30
	v_ffbh_u32_e32 v15, v18
	v_min_u32_e32 v15, 32, v15
	v_alignbit_b32 v11, v12, v11, 30
	v_xor_b32_e32 v14, v14, v22
	v_sub_u32_e32 v16, 31, v15
	v_xor_b32_e32 v11, v11, v22
	v_alignbit_b32 v17, v18, v14, v16
	v_alignbit_b32 v11, v14, v11, v16
	;; [unrolled: 1-line block ×3, first 2 shown]
	v_ffbh_u32_e32 v14, v12
	v_min_u32_e32 v14, 32, v14
	v_lshrrev_b32_e32 v19, 29, v13
	v_not_b32_e32 v16, v14
	v_alignbit_b32 v11, v12, v11, v16
	v_lshlrev_b32_e32 v12, 31, v19
	v_or_b32_e32 v16, 0x33000000, v12
	v_add_lshl_u32 v14, v14, v15, 23
	v_lshrrev_b32_e32 v11, 9, v11
	v_sub_u32_e32 v14, v16, v14
	v_or_b32_e32 v12, 0.5, v12
	v_lshlrev_b32_e32 v15, 23, v15
	v_or_b32_e32 v11, v14, v11
	v_lshrrev_b32_e32 v14, 9, v17
	v_sub_u32_e32 v12, v12, v15
	v_or_b32_e32 v12, v14, v12
	s_mov_b32 s4, 0x3fc90fda
	v_mul_f32_e32 v14, 0x3fc90fda, v12
	v_fma_f32 v15, v12, s4, -v14
	v_fmac_f32_e32 v15, 0x33a22168, v12
	v_fmac_f32_e32 v15, 0x3fc90fda, v11
	v_lshrrev_b32_e32 v11, 30, v13
	v_add_f32_e32 v12, v14, v15
	v_add_u32_e32 v11, v21, v11
	s_andn2_saveexec_b64 s[4:5], s[14:15]
	s_cbranch_execnz .LBB13_38
	s_branch .LBB13_39
.LBB13_37:
	s_andn2_saveexec_b64 s[4:5], s[14:15]
	s_cbranch_execz .LBB13_39
.LBB13_38:
	s_mov_b32 s6, 0x3f22f983
	v_mul_f32_e64 v11, |v2|, s6
	v_rndne_f32_e32 v13, v11
	s_mov_b32 s6, 0xbfc90fda
	v_cvt_i32_f32_e32 v11, v13
	v_fma_f32 v12, v13, s6, |v2|
	v_fmac_f32_e32 v12, 0xb3a22168, v13
	v_fmac_f32_e32 v12, 0xa7c234c4, v13
.LBB13_39:
	s_or_b64 exec, exec, s[4:5]
	v_mul_f32_e32 v13, v3, v3
	s_mov_b32 s6, 0x41c80000
	v_div_scale_f32 v14, s[4:5], v13, v13, s6
	v_div_scale_f32 v15, vcc, s6, v13, s6
	v_mov_b32_e32 v21, 0x3a725406
	v_mov_b32_e32 v22, 0x3daf5e2d
	;; [unrolled: 1-line block ×4, first 2 shown]
	v_xor_b32_e32 v7, v7, v2
	v_rcp_f32_e32 v16, v14
	v_fma_f32 v17, -v14, v16, 1.0
	v_fmac_f32_e32 v16, v17, v16
	v_mul_f32_e32 v17, v15, v16
	v_fma_f32 v18, -v14, v17, v15
	v_fmac_f32_e32 v17, v18, v16
	v_fma_f32 v14, -v14, v17, v15
	v_div_fmas_f32 v14, v14, v16, v17
	v_mov_b32_e32 v15, 0x3a50e985
	v_mov_b32_e32 v16, 0x3da9a586
	v_mov_b32_e32 v17, 0x3f9ea90a
	v_mov_b32_e32 v18, 0x40ae4fdf
	v_div_fixup_f32 v13, v14, v13, s6
	v_fmac_f32_e32 v15, 0, v13
	v_fmac_f32_e32 v21, 0, v13
	v_mov_b32_e32 v14, 0x3fa07396
	v_fmac_f32_e32 v16, v13, v15
	v_fmac_f32_e32 v22, v13, v21
	v_mov_b32_e32 v15, 0x40af123f
	v_fmac_f32_e32 v17, v13, v16
	v_fmac_f32_e32 v14, v13, v22
	v_mov_b32_e32 v21, 0x410c30c7
	v_fmac_f32_e32 v18, v13, v17
	v_fmac_f32_e32 v15, v13, v14
	v_mov_b32_e32 v16, 0x40a9cb2f
	v_fmac_f32_e32 v19, v13, v18
	v_fmac_f32_e32 v21, v13, v15
	;; [unrolled: 1-line block ×4, first 2 shown]
	v_fma_f32 v14, v13, v16, 1.0
	v_fma_f32 v15, v13, v20, 1.0
	v_div_scale_f32 v16, s[4:5], v14, v14, v15
	v_div_scale_f32 v17, vcc, v15, v14, v15
	v_mov_b32_e32 v19, 0xbc3a3a12
	v_mov_b32_e32 v20, 0xbfa429da
	v_fmac_f32_e32 v19, 0, v13
	v_fmac_f32_e32 v20, v13, v19
	v_mov_b32_e32 v19, 0x44561b86
	s_mov_b32 s6, 0x40a00000
	v_rcp_f32_e32 v18, v16
	v_fma_f32 v21, -v16, v18, 1.0
	v_fmac_f32_e32 v18, v21, v18
	v_mul_f32_e32 v21, v17, v18
	v_fma_f32 v22, -v16, v21, v17
	v_fmac_f32_e32 v21, v22, v18
	v_fma_f32 v16, -v16, v21, v17
	v_div_fmas_f32 v16, v16, v18, v21
	v_mov_b32_e32 v21, 0x4280a2ba
	v_mov_b32_e32 v22, 0xc19c6e80
	v_fmac_f32_e32 v21, 0, v13
	v_fmac_f32_e32 v19, v13, v21
	;; [unrolled: 1-line block ×3, first 2 shown]
	v_mov_b32_e32 v20, 0x4572a66e
	v_fmac_f32_e32 v20, v13, v19
	v_div_scale_f32 v19, s[4:5], v3, v3, s6
	v_mov_b32_e32 v17, 0xc2ba697b
	v_mov_b32_e32 v18, 0xc331ae61
	v_fmac_f32_e32 v17, v13, v22
	v_mov_b32_e32 v22, 0x45e243be
	v_mov_b32_e32 v21, 0xc31313d7
	v_fmac_f32_e32 v22, v13, v20
	v_mov_b32_e32 v20, 0x45b955d1
	v_fmac_f32_e32 v18, v13, v17
	v_div_scale_f32 v17, vcc, s6, v3, s6
	v_fmac_f32_e32 v20, v13, v22
	v_mov_b32_e32 v22, 0xc24da463
	v_fmac_f32_e32 v21, v13, v18
	v_mov_b32_e32 v18, 0x4500e17e
	;; [unrolled: 2-line block ×4, first 2 shown]
	v_fmac_f32_e32 v21, v13, v18
	v_fmac_f32_e32 v20, v13, v22
	v_div_scale_f32 v13, s[4:5], v21, v21, v20
	v_rcp_f32_e32 v18, v19
	v_div_fixup_f32 v14, v16, v14, v15
	v_div_scale_f32 v16, s[4:5], v20, v21, v20
	v_fma_f32 v15, -v19, v18, 1.0
	v_fmac_f32_e32 v18, v15, v18
	v_mul_f32_e32 v15, v17, v18
	v_fma_f32 v22, -v19, v15, v17
	v_fmac_f32_e32 v15, v22, v18
	v_fma_f32 v17, -v19, v15, v17
	v_mul_f32_e32 v22, v9, v9
	v_mov_b32_e32 v19, 0x3c0881c4
	v_div_fmas_f32 v15, v17, v18, v15
	v_fmac_f32_e32 v19, 0xb94c1982, v22
	v_rcp_f32_e32 v18, v13
	v_mov_b32_e32 v17, 0xbe2aaa9d
	v_fma_f32 v19, v22, v19, v17
	v_mul_f32_e32 v19, v22, v19
	v_fmac_f32_e32 v9, v9, v19
	v_fma_f32 v19, -v13, v18, 1.0
	v_fmac_f32_e32 v18, v19, v18
	v_mul_f32_e32 v19, v16, v18
	v_fma_f32 v23, -v13, v19, v16
	v_fmac_f32_e32 v19, v23, v18
	v_fma_f32 v13, -v13, v19, v16
	s_mov_b64 vcc, s[4:5]
	v_div_fmas_f32 v13, v13, v18, v19
	v_mov_b32_e32 v16, 0xbab64f3b
	v_fmac_f32_e32 v16, 0x37d75334, v22
	v_mov_b32_e32 v18, 0x3d2aabf7
	v_fma_f32 v16, v22, v16, v18
	v_mov_b32_e32 v19, 0xbf000004
	v_fma_f32 v16, v22, v16, v19
	v_fma_f32 v16, v22, v16, 1.0
	v_and_b32_e32 v22, 1, v8
	v_lshlrev_b32_e32 v8, 30, v8
	v_cmp_eq_u32_e32 vcc, 0, v22
	v_and_b32_e32 v8, 0x80000000, v8
	v_cndmask_b32_e32 v9, v16, v9, vcc
	v_xor_b32_e32 v7, v7, v8
	s_movk_i32 s4, 0x1f8
	v_xor_b32_e32 v7, v7, v9
	v_mov_b32_e32 v8, 0x7fc00000
	v_cmp_class_f32_e64 vcc, v2, s4
	v_cndmask_b32_e32 v2, v8, v7, vcc
	v_div_fixup_f32 v7, v15, v3, s6
	v_div_fixup_f32 v9, v13, v21, v20
	v_mov_b32_e32 v22, 0x3c0881c4
	v_mul_f32_e32 v7, v7, v9
	v_mul_f32_e32 v9, v12, v12
	v_mov_b32_e32 v16, 0xbab64f3b
	v_fmac_f32_e32 v22, 0xb94c1982, v9
	v_fmac_f32_e32 v17, v9, v22
	;; [unrolled: 1-line block ×3, first 2 shown]
	v_mul_f32_e32 v13, v9, v17
	v_fmac_f32_e32 v18, v9, v16
	v_fmac_f32_e32 v12, v12, v13
	;; [unrolled: 1-line block ×3, first 2 shown]
	v_and_b32_e32 v13, 1, v11
	v_fma_f32 v9, v9, v19, 1.0
	v_cmp_eq_u32_e64 s[4:5], 0, v13
	v_lshlrev_b32_e32 v11, 30, v11
	v_cndmask_b32_e64 v9, -v12, v9, s[4:5]
	v_and_b32_e32 v11, 0x80000000, v11
	v_xor_b32_e32 v9, v11, v9
	s_mov_b32 s4, 0xf800000
	v_cndmask_b32_e32 v8, v8, v9, vcc
	v_mul_f32_e32 v9, 0x4f800000, v3
	v_cmp_gt_f32_e32 vcc, s4, v3
	v_cndmask_b32_e32 v3, v3, v9, vcc
	v_sqrt_f32_e32 v9, v3
	v_mul_f32_e32 v7, v7, v8
	v_fmac_f32_e32 v7, v14, v2
	v_mul_f32_e32 v2, 0x3f4c422a, v7
	v_add_u32_e32 v7, -1, v9
	v_fma_f32 v8, -v7, v9, v3
	v_cmp_ge_f32_e64 s[4:5], 0, v8
	v_add_u32_e32 v8, 1, v9
	v_cndmask_b32_e64 v7, v9, v7, s[4:5]
	v_fma_f32 v9, -v8, v9, v3
	v_cmp_lt_f32_e64 s[4:5], 0, v9
	v_cndmask_b32_e64 v7, v7, v8, s[4:5]
	v_mul_f32_e32 v8, 0x37800000, v7
	v_cndmask_b32_e32 v7, v7, v8, vcc
	v_mov_b32_e32 v8, 0x260
	v_cmp_class_f32_e32 vcc, v3, v8
	v_cndmask_b32_e32 v3, v7, v3, vcc
	v_div_scale_f32 v7, s[4:5], v3, v3, v2
	v_div_scale_f32 v8, vcc, v2, v3, v2
	v_rcp_f32_e32 v9, v7
	v_fma_f32 v11, -v7, v9, 1.0
	v_fmac_f32_e32 v9, v11, v9
	v_mul_f32_e32 v11, v8, v9
	v_fma_f32 v12, -v7, v11, v8
	v_fmac_f32_e32 v11, v12, v9
	v_fma_f32 v7, -v7, v11, v8
	v_div_fmas_f32 v7, v7, v9, v11
	v_div_fixup_f32 v7, v7, v3, v2
.LBB13_40:
	s_or_b64 exec, exec, s[12:13]
	s_mov_b32 s4, 0x40a00000
	v_cmp_ge_f32_e32 vcc, s4, v4
	s_and_saveexec_b64 s[4:5], vcc
	s_xor_b64 s[6:7], exec, s[4:5]
	s_cbranch_execz .LBB13_50
; %bb.41:
	v_cmp_neq_f32_e32 vcc, 0, v4
	v_mov_b32_e32 v8, 0xff800000
	s_and_saveexec_b64 s[8:9], vcc
	s_cbranch_execz .LBB13_49
; %bb.42:
	v_cmp_ngt_f32_e32 vcc, 0, v4
	v_mov_b32_e32 v8, 0x7fc00000
	s_and_saveexec_b64 s[12:13], vcc
	s_cbranch_execz .LBB13_48
; %bb.43:
	v_mul_f32_e32 v2, v4, v4
	s_mov_b32 s4, 0x3727c5ac
	v_mul_f32_e32 v8, 0, v2
	v_cmp_ngt_f32_e32 vcc, s4, v4
                                        ; implicit-def: $vgpr3
	s_and_saveexec_b64 s[4:5], vcc
	s_xor_b64 s[4:5], exec, s[4:5]
	s_cbranch_execz .LBB13_45
; %bb.44:
	v_add_f32_e32 v3, 0xcf8ee29d, v8
	v_mov_b32_e32 v9, 0x53e3ba8e
	v_fmac_f32_e32 v9, v2, v3
	v_mov_b32_e32 v3, 0xd762b0a7
	v_fmac_f32_e32 v3, v2, v9
	v_add_f32_e32 v9, 0x43f9c815, v8
	v_mov_b32_e32 v11, 0x4829b65a
	v_fmac_f32_e32 v11, v2, v9
	v_mov_b32_e32 v9, 0x4c38c9a1
	v_fmac_f32_e32 v9, v2, v11
	;; [unrolled: 2-line block ×8, first 2 shown]
	v_add_f32_e32 v3, 0xc0b90fdc, v2
	v_add_f32_e32 v12, 0xc1f3c525, v2
	v_mul_f32_e32 v3, v3, v12
	v_mul_f32_e32 v3, v3, v9
	v_div_scale_f32 v9, s[14:15], v11, v11, v3
	v_div_scale_f32 v12, vcc, v3, v11, v3
	v_rcp_f32_e32 v13, v9
	v_fma_f32 v14, -v9, v13, 1.0
	v_fmac_f32_e32 v13, v14, v13
	v_mul_f32_e32 v14, v12, v13
	v_fma_f32 v15, -v9, v14, v12
	v_fmac_f32_e32 v14, v15, v13
	v_fma_f32 v9, -v9, v14, v12
	v_div_fmas_f32 v9, v9, v13, v14
	v_div_fixup_f32 v3, v9, v11, v3
.LBB13_45:
	s_andn2_saveexec_b64 s[4:5], s[4:5]
; %bb.46:
	s_mov_b32 s14, 0xbe800000
	v_fma_f32 v3, v2, s14, 1.0
; %bb.47:
	s_or_b64 exec, exec, s[4:5]
	v_add_f32_e32 v9, 0x4673a1bf, v8
	v_mov_b32_e32 v11, 0xcb5fc0fa
	v_fmac_f32_e32 v11, v2, v9
	v_mov_b32_e32 v9, 0x4fa1fbc8
	v_fmac_f32_e32 v9, v2, v11
	;; [unrolled: 2-line block ×6, first 2 shown]
	v_add_f32_e32 v8, 0x44822913, v8
	v_mov_b32_e32 v11, 0x4918dbb5
	v_fmac_f32_e32 v11, v2, v8
	v_mov_b32_e32 v8, 0x4d803b1b
	v_fmac_f32_e32 v8, v2, v11
	;; [unrolled: 2-line block ×7, first 2 shown]
	v_div_scale_f32 v2, s[4:5], v8, v8, v11
	v_div_scale_f32 v9, vcc, v11, v8, v11
	s_mov_b32 s4, 0x800000
	v_rcp_f32_e32 v12, v2
	v_fma_f32 v13, -v2, v12, 1.0
	v_fmac_f32_e32 v12, v13, v12
	v_mul_f32_e32 v13, v9, v12
	v_fma_f32 v14, -v2, v13, v9
	v_fmac_f32_e32 v13, v14, v12
	v_fma_f32 v2, -v2, v13, v9
	v_div_fmas_f32 v2, v2, v12, v13
	v_cmp_gt_f32_e32 vcc, s4, v4
	v_cndmask_b32_e64 v9, 0, 32, vcc
	v_ldexp_f32 v9, v4, v9
	v_log_f32_e32 v9, v9
	s_mov_b32 s4, 0x3f317217
	v_mul_f32_e32 v12, 0x3f317217, v9
	v_fma_f32 v12, v9, s4, -v12
	v_fmac_f32_e32 v12, 0x3377d1cf, v9
	s_mov_b32 s4, 0x7f800000
	v_fmac_f32_e32 v12, 0x3f317217, v9
	v_cmp_lt_f32_e64 s[4:5], |v9|, s4
	v_div_fixup_f32 v8, v2, v8, v11
	v_cndmask_b32_e64 v2, v9, v12, s[4:5]
	v_mov_b32_e32 v9, 0x41b17218
	v_cndmask_b32_e32 v9, 0, v9, vcc
	v_sub_f32_e32 v2, v2, v9
	v_mul_f32_e32 v2, 0x3f22f983, v2
	v_fmac_f32_e32 v8, v2, v3
.LBB13_48:
	s_or_b64 exec, exec, s[12:13]
.LBB13_49:
	s_or_b64 exec, exec, s[8:9]
.LBB13_50:
	s_andn2_saveexec_b64 s[12:13], s[6:7]
	s_cbranch_execz .LBB13_60
; %bb.51:
	v_add_f32_e32 v2, 0xbf490fdb, v4
	v_and_b32_e32 v3, 0x7fffffff, v2
	s_brev_b32 s4, 18
	v_cmp_nlt_f32_e64 s[14:15], |v2|, s4
	v_lshrrev_b32_e32 v13, 23, v3
                                        ; implicit-def: $vgpr8
                                        ; implicit-def: $vgpr9
	s_and_saveexec_b64 s[4:5], s[14:15]
	s_xor_b64 s[16:17], exec, s[4:5]
	s_cbranch_execz .LBB13_53
; %bb.52:
	v_and_b32_e32 v8, 0x7fffff, v3
	v_or_b32_e32 v20, 0x800000, v8
	s_mov_b32 s4, 0xfe5163ab
	v_mad_u64_u32 v[8:9], s[4:5], v20, s4, 0
	v_mov_b32_e32 v12, 0
	s_mov_b32 s4, 0x3c439041
	v_mov_b32_e32 v11, v9
	v_mad_u64_u32 v[14:15], s[4:5], v20, s4, v[11:12]
	s_mov_b32 s4, 0xdb629599
	v_add_u32_e32 v9, 0xffffff88, v13
	v_mov_b32_e32 v11, v15
	v_mad_u64_u32 v[15:16], s[4:5], v20, s4, v[11:12]
	s_mov_b32 s4, 0xf534ddc0
	v_not_b32_e32 v19, 63
	v_mov_b32_e32 v11, v16
	v_mad_u64_u32 v[16:17], s[4:5], v20, s4, v[11:12]
	s_mov_b32 s4, 0xfc2757d1
	v_cmp_lt_u32_e32 vcc, 63, v9
	v_mov_b32_e32 v11, v17
	v_mad_u64_u32 v[17:18], s[4:5], v20, s4, v[11:12]
	v_cndmask_b32_e32 v11, 0, v19, vcc
	v_add_u32_e32 v9, v11, v9
	v_mov_b32_e32 v11, v18
	s_mov_b32 s4, 0x4e441529
	v_mad_u64_u32 v[18:19], s[4:5], v20, s4, v[11:12]
	v_not_b32_e32 v21, 31
	v_cmp_lt_u32_e64 s[4:5], 31, v9
	v_cndmask_b32_e64 v11, 0, v21, s[4:5]
	v_add_u32_e32 v9, v11, v9
	v_mov_b32_e32 v11, v19
	s_mov_b32 s6, 0xa2f9836e
	v_mad_u64_u32 v[11:12], s[6:7], v20, s6, v[11:12]
	v_cmp_lt_u32_e64 s[6:7], 31, v9
	v_cndmask_b32_e64 v19, 0, v21, s[6:7]
	v_add_u32_e32 v9, v19, v9
	v_cndmask_b32_e32 v19, v18, v16, vcc
	v_cndmask_b32_e32 v11, v11, v17, vcc
	;; [unrolled: 1-line block ×3, first 2 shown]
	v_cndmask_b32_e64 v20, v11, v19, s[4:5]
	v_cndmask_b32_e64 v11, v12, v11, s[4:5]
	v_cndmask_b32_e32 v12, v17, v15, vcc
	v_cndmask_b32_e64 v17, v19, v12, s[4:5]
	v_sub_u32_e32 v19, 32, v9
	v_cmp_eq_u32_e64 s[8:9], 0, v9
	v_cndmask_b32_e32 v9, v16, v14, vcc
	v_cndmask_b32_e64 v11, v11, v20, s[6:7]
	v_cndmask_b32_e64 v18, v20, v17, s[6:7]
	;; [unrolled: 1-line block ×3, first 2 shown]
	v_alignbit_b32 v20, v11, v18, v19
	v_cndmask_b32_e64 v14, v17, v12, s[6:7]
	v_cndmask_b32_e64 v11, v20, v11, s[8:9]
	v_alignbit_b32 v16, v18, v14, v19
	v_cndmask_b32_e32 v8, v15, v8, vcc
	v_cndmask_b32_e64 v16, v16, v18, s[8:9]
	v_bfe_u32 v20, v11, 29, 1
	v_cndmask_b32_e64 v8, v9, v8, s[4:5]
	v_alignbit_b32 v17, v11, v16, 30
	v_sub_u32_e32 v21, 0, v20
	v_cndmask_b32_e64 v8, v12, v8, s[6:7]
	v_xor_b32_e32 v17, v17, v21
	v_alignbit_b32 v9, v14, v8, v19
	v_cndmask_b32_e64 v9, v9, v14, s[8:9]
	v_ffbh_u32_e32 v14, v17
	v_alignbit_b32 v12, v16, v9, 30
	v_min_u32_e32 v14, 32, v14
	v_alignbit_b32 v8, v9, v8, 30
	v_xor_b32_e32 v12, v12, v21
	v_sub_u32_e32 v15, 31, v14
	v_xor_b32_e32 v8, v8, v21
	v_alignbit_b32 v16, v17, v12, v15
	v_alignbit_b32 v8, v12, v8, v15
	;; [unrolled: 1-line block ×3, first 2 shown]
	v_ffbh_u32_e32 v12, v9
	v_min_u32_e32 v12, 32, v12
	v_lshrrev_b32_e32 v18, 29, v11
	v_not_b32_e32 v15, v12
	v_alignbit_b32 v8, v9, v8, v15
	v_lshlrev_b32_e32 v9, 31, v18
	v_or_b32_e32 v15, 0x33000000, v9
	v_add_lshl_u32 v12, v12, v14, 23
	v_lshrrev_b32_e32 v8, 9, v8
	v_sub_u32_e32 v12, v15, v12
	v_or_b32_e32 v9, 0.5, v9
	v_lshlrev_b32_e32 v14, 23, v14
	v_or_b32_e32 v8, v12, v8
	v_lshrrev_b32_e32 v12, 9, v16
	v_sub_u32_e32 v9, v9, v14
	v_or_b32_e32 v9, v12, v9
	s_mov_b32 s4, 0x3fc90fda
	v_mul_f32_e32 v12, 0x3fc90fda, v9
	v_fma_f32 v14, v9, s4, -v12
	v_fmac_f32_e32 v14, 0x33a22168, v9
	v_fmac_f32_e32 v14, 0x3fc90fda, v8
	v_lshrrev_b32_e32 v8, 30, v11
	v_add_f32_e32 v9, v12, v14
	v_add_u32_e32 v8, v20, v8
	s_andn2_saveexec_b64 s[4:5], s[16:17]
	s_cbranch_execz .LBB13_55
	s_branch .LBB13_54
.LBB13_53:
	s_andn2_saveexec_b64 s[4:5], s[16:17]
	s_cbranch_execz .LBB13_55
.LBB13_54:
	s_mov_b32 s6, 0x3f22f983
	v_mul_f32_e64 v8, |v2|, s6
	v_rndne_f32_e32 v11, v8
	s_mov_b32 s6, 0xbfc90fda
	v_cvt_i32_f32_e32 v8, v11
	v_fma_f32 v9, v11, s6, |v2|
	v_fmac_f32_e32 v9, 0xb3a22168, v11
	v_fmac_f32_e32 v9, 0xa7c234c4, v11
.LBB13_55:
	s_or_b64 exec, exec, s[4:5]
                                        ; implicit-def: $vgpr11
                                        ; implicit-def: $vgpr12
	s_and_saveexec_b64 s[4:5], s[14:15]
	s_xor_b64 s[14:15], exec, s[4:5]
	s_cbranch_execz .LBB13_57
; %bb.56:
	v_and_b32_e32 v11, 0x7fffff, v3
	v_or_b32_e32 v20, 0x800000, v11
	s_mov_b32 s4, 0xfe5163ab
	v_mad_u64_u32 v[11:12], s[4:5], v20, s4, 0
	v_mov_b32_e32 v15, 0
	s_mov_b32 s4, 0x3c439041
	v_mov_b32_e32 v14, v12
	v_mad_u64_u32 v[16:17], s[4:5], v20, s4, v[14:15]
	s_mov_b32 s4, 0xdb629599
	v_add_u32_e32 v21, 0xffffff88, v13
	v_mov_b32_e32 v14, v17
	v_mad_u64_u32 v[17:18], s[4:5], v20, s4, v[14:15]
	s_mov_b32 s4, 0xf534ddc0
	v_not_b32_e32 v22, 63
	v_mov_b32_e32 v14, v18
	v_mad_u64_u32 v[18:19], s[4:5], v20, s4, v[14:15]
	s_mov_b32 s4, 0xfc2757d1
	v_cmp_lt_u32_e32 vcc, 63, v21
	v_mov_b32_e32 v14, v19
	v_mad_u64_u32 v[12:13], s[4:5], v20, s4, v[14:15]
	v_cndmask_b32_e32 v14, 0, v22, vcc
	v_add_u32_e32 v19, v14, v21
	v_mov_b32_e32 v14, v13
	s_mov_b32 s4, 0x4e441529
	v_mad_u64_u32 v[13:14], s[4:5], v20, s4, v[14:15]
	v_not_b32_e32 v21, 31
	v_cmp_lt_u32_e64 s[4:5], 31, v19
	s_mov_b32 s6, 0xa2f9836e
	v_cndmask_b32_e64 v22, 0, v21, s[4:5]
	v_mad_u64_u32 v[14:15], s[6:7], v20, s6, v[14:15]
	v_add_u32_e32 v19, v22, v19
	v_cmp_lt_u32_e64 s[6:7], 31, v19
	v_cndmask_b32_e64 v20, 0, v21, s[6:7]
	v_add_u32_e32 v19, v20, v19
	v_cndmask_b32_e32 v20, v13, v18, vcc
	v_cndmask_b32_e32 v14, v14, v12, vcc
	;; [unrolled: 1-line block ×4, first 2 shown]
	v_cndmask_b32_e64 v21, v14, v20, s[4:5]
	v_cndmask_b32_e64 v13, v13, v14, s[4:5]
	;; [unrolled: 1-line block ×3, first 2 shown]
	v_cndmask_b32_e32 v16, v18, v16, vcc
	v_cndmask_b32_e64 v13, v13, v21, s[6:7]
	v_cndmask_b32_e64 v15, v21, v14, s[6:7]
	v_sub_u32_e32 v20, 32, v19
	v_cndmask_b32_e64 v12, v12, v16, s[4:5]
	v_alignbit_b32 v21, v13, v15, v20
	v_cmp_eq_u32_e64 s[8:9], 0, v19
	v_cndmask_b32_e64 v14, v14, v12, s[6:7]
	v_cndmask_b32_e32 v11, v17, v11, vcc
	v_cndmask_b32_e64 v13, v21, v13, s[8:9]
	v_alignbit_b32 v18, v15, v14, v20
	v_cndmask_b32_e64 v11, v16, v11, s[4:5]
	v_cndmask_b32_e64 v15, v18, v15, s[8:9]
	v_bfe_u32 v21, v13, 29, 1
	v_cndmask_b32_e64 v11, v12, v11, s[6:7]
	v_alignbit_b32 v18, v13, v15, 30
	v_sub_u32_e32 v22, 0, v21
	v_alignbit_b32 v12, v14, v11, v20
	v_xor_b32_e32 v18, v18, v22
	v_cndmask_b32_e64 v12, v12, v14, s[8:9]
	v_alignbit_b32 v14, v15, v12, 30
	v_ffbh_u32_e32 v15, v18
	v_min_u32_e32 v15, 32, v15
	v_alignbit_b32 v11, v12, v11, 30
	v_xor_b32_e32 v14, v14, v22
	v_sub_u32_e32 v16, 31, v15
	v_xor_b32_e32 v11, v11, v22
	v_alignbit_b32 v17, v18, v14, v16
	v_alignbit_b32 v11, v14, v11, v16
	;; [unrolled: 1-line block ×3, first 2 shown]
	v_ffbh_u32_e32 v14, v12
	v_min_u32_e32 v14, 32, v14
	v_lshrrev_b32_e32 v19, 29, v13
	v_not_b32_e32 v16, v14
	v_alignbit_b32 v11, v12, v11, v16
	v_lshlrev_b32_e32 v12, 31, v19
	v_or_b32_e32 v16, 0x33000000, v12
	v_add_lshl_u32 v14, v14, v15, 23
	v_lshrrev_b32_e32 v11, 9, v11
	v_sub_u32_e32 v14, v16, v14
	v_or_b32_e32 v12, 0.5, v12
	v_lshlrev_b32_e32 v15, 23, v15
	v_or_b32_e32 v11, v14, v11
	v_lshrrev_b32_e32 v14, 9, v17
	v_sub_u32_e32 v12, v12, v15
	v_or_b32_e32 v12, v14, v12
	s_mov_b32 s4, 0x3fc90fda
	v_mul_f32_e32 v14, 0x3fc90fda, v12
	v_fma_f32 v15, v12, s4, -v14
	v_fmac_f32_e32 v15, 0x33a22168, v12
	v_fmac_f32_e32 v15, 0x3fc90fda, v11
	v_lshrrev_b32_e32 v11, 30, v13
	v_add_f32_e32 v12, v14, v15
	v_add_u32_e32 v11, v21, v11
	s_andn2_saveexec_b64 s[4:5], s[14:15]
	s_cbranch_execnz .LBB13_58
	s_branch .LBB13_59
.LBB13_57:
	s_andn2_saveexec_b64 s[4:5], s[14:15]
	s_cbranch_execz .LBB13_59
.LBB13_58:
	s_mov_b32 s6, 0x3f22f983
	v_mul_f32_e64 v11, |v2|, s6
	v_rndne_f32_e32 v13, v11
	s_mov_b32 s6, 0xbfc90fda
	v_cvt_i32_f32_e32 v11, v13
	v_fma_f32 v12, v13, s6, |v2|
	v_fmac_f32_e32 v12, 0xb3a22168, v13
	v_fmac_f32_e32 v12, 0xa7c234c4, v13
.LBB13_59:
	s_or_b64 exec, exec, s[4:5]
	v_mul_f32_e32 v13, v4, v4
	s_mov_b32 s6, 0x41c80000
	v_div_scale_f32 v14, s[4:5], v13, v13, s6
	v_div_scale_f32 v15, vcc, s6, v13, s6
	v_mov_b32_e32 v21, 0x3a725406
	v_mov_b32_e32 v22, 0x3daf5e2d
	;; [unrolled: 1-line block ×4, first 2 shown]
	v_xor_b32_e32 v3, v3, v2
	v_rcp_f32_e32 v16, v14
	v_fma_f32 v17, -v14, v16, 1.0
	v_fmac_f32_e32 v16, v17, v16
	v_mul_f32_e32 v17, v15, v16
	v_fma_f32 v18, -v14, v17, v15
	v_fmac_f32_e32 v17, v18, v16
	v_fma_f32 v14, -v14, v17, v15
	v_div_fmas_f32 v14, v14, v16, v17
	v_mov_b32_e32 v15, 0x3a50e985
	v_mov_b32_e32 v16, 0x3da9a586
	;; [unrolled: 1-line block ×4, first 2 shown]
	v_div_fixup_f32 v13, v14, v13, s6
	v_fmac_f32_e32 v15, 0, v13
	v_fmac_f32_e32 v21, 0, v13
	v_mov_b32_e32 v14, 0x3fa07396
	v_fmac_f32_e32 v16, v13, v15
	v_fmac_f32_e32 v22, v13, v21
	v_mov_b32_e32 v15, 0x40af123f
	;; [unrolled: 3-line block ×4, first 2 shown]
	v_fmac_f32_e32 v19, v13, v18
	v_fmac_f32_e32 v21, v13, v15
	;; [unrolled: 1-line block ×4, first 2 shown]
	v_fma_f32 v14, v13, v16, 1.0
	v_fma_f32 v15, v13, v20, 1.0
	v_div_scale_f32 v16, s[4:5], v14, v14, v15
	v_div_scale_f32 v17, vcc, v15, v14, v15
	v_mov_b32_e32 v19, 0xbc3a3a12
	v_mov_b32_e32 v20, 0xbfa429da
	v_fmac_f32_e32 v19, 0, v13
	v_fmac_f32_e32 v20, v13, v19
	v_mov_b32_e32 v19, 0x44561b86
	s_mov_b32 s6, 0x40a00000
	v_rcp_f32_e32 v18, v16
	v_fma_f32 v21, -v16, v18, 1.0
	v_fmac_f32_e32 v18, v21, v18
	v_mul_f32_e32 v21, v17, v18
	v_fma_f32 v22, -v16, v21, v17
	v_fmac_f32_e32 v21, v22, v18
	v_fma_f32 v16, -v16, v21, v17
	v_div_fmas_f32 v16, v16, v18, v21
	v_mov_b32_e32 v21, 0x4280a2ba
	v_mov_b32_e32 v22, 0xc19c6e80
	v_fmac_f32_e32 v21, 0, v13
	v_fmac_f32_e32 v19, v13, v21
	;; [unrolled: 1-line block ×3, first 2 shown]
	v_mov_b32_e32 v20, 0x4572a66e
	v_fmac_f32_e32 v20, v13, v19
	v_div_scale_f32 v19, s[4:5], v4, v4, s6
	v_mov_b32_e32 v17, 0xc2ba697b
	v_mov_b32_e32 v18, 0xc331ae61
	v_fmac_f32_e32 v17, v13, v22
	v_mov_b32_e32 v22, 0x45e243be
	v_mov_b32_e32 v21, 0xc31313d7
	v_fmac_f32_e32 v22, v13, v20
	v_mov_b32_e32 v20, 0x45b955d1
	v_fmac_f32_e32 v18, v13, v17
	v_div_scale_f32 v17, vcc, s6, v4, s6
	v_fmac_f32_e32 v20, v13, v22
	v_mov_b32_e32 v22, 0xc24da463
	v_fmac_f32_e32 v21, v13, v18
	v_mov_b32_e32 v18, 0x4500e17e
	;; [unrolled: 2-line block ×4, first 2 shown]
	v_fmac_f32_e32 v21, v13, v18
	v_fmac_f32_e32 v20, v13, v22
	v_div_scale_f32 v13, s[4:5], v21, v21, v20
	v_rcp_f32_e32 v18, v19
	v_div_fixup_f32 v14, v16, v14, v15
	v_div_scale_f32 v16, s[4:5], v20, v21, v20
	v_fma_f32 v15, -v19, v18, 1.0
	v_fmac_f32_e32 v18, v15, v18
	v_mul_f32_e32 v15, v17, v18
	v_fma_f32 v22, -v19, v15, v17
	v_fmac_f32_e32 v15, v22, v18
	v_fma_f32 v17, -v19, v15, v17
	v_mul_f32_e32 v22, v9, v9
	v_mov_b32_e32 v19, 0x3c0881c4
	v_div_fmas_f32 v15, v17, v18, v15
	v_fmac_f32_e32 v19, 0xb94c1982, v22
	v_rcp_f32_e32 v18, v13
	v_mov_b32_e32 v17, 0xbe2aaa9d
	v_fma_f32 v19, v22, v19, v17
	v_mul_f32_e32 v19, v22, v19
	v_fmac_f32_e32 v9, v9, v19
	v_fma_f32 v19, -v13, v18, 1.0
	v_fmac_f32_e32 v18, v19, v18
	v_mul_f32_e32 v19, v16, v18
	v_fma_f32 v23, -v13, v19, v16
	v_fmac_f32_e32 v19, v23, v18
	v_fma_f32 v13, -v13, v19, v16
	s_mov_b64 vcc, s[4:5]
	v_div_fmas_f32 v13, v13, v18, v19
	v_mov_b32_e32 v16, 0xbab64f3b
	v_fmac_f32_e32 v16, 0x37d75334, v22
	v_mov_b32_e32 v18, 0x3d2aabf7
	v_fma_f32 v16, v22, v16, v18
	v_mov_b32_e32 v19, 0xbf000004
	v_fma_f32 v16, v22, v16, v19
	v_fma_f32 v16, v22, v16, 1.0
	v_and_b32_e32 v22, 1, v8
	v_lshlrev_b32_e32 v8, 30, v8
	v_cmp_eq_u32_e32 vcc, 0, v22
	v_and_b32_e32 v8, 0x80000000, v8
	v_cndmask_b32_e32 v9, v16, v9, vcc
	v_xor_b32_e32 v3, v3, v8
	s_movk_i32 s4, 0x1f8
	v_xor_b32_e32 v3, v3, v9
	v_mov_b32_e32 v8, 0x7fc00000
	v_cmp_class_f32_e64 vcc, v2, s4
	v_cndmask_b32_e32 v2, v8, v3, vcc
	v_div_fixup_f32 v3, v15, v4, s6
	v_div_fixup_f32 v9, v13, v21, v20
	v_mov_b32_e32 v22, 0x3c0881c4
	v_mul_f32_e32 v3, v3, v9
	v_mul_f32_e32 v9, v12, v12
	v_mov_b32_e32 v16, 0xbab64f3b
	v_fmac_f32_e32 v22, 0xb94c1982, v9
	v_fmac_f32_e32 v17, v9, v22
	;; [unrolled: 1-line block ×3, first 2 shown]
	v_mul_f32_e32 v13, v9, v17
	v_fmac_f32_e32 v18, v9, v16
	v_fmac_f32_e32 v12, v12, v13
	;; [unrolled: 1-line block ×3, first 2 shown]
	v_and_b32_e32 v13, 1, v11
	v_fma_f32 v9, v9, v19, 1.0
	v_cmp_eq_u32_e64 s[4:5], 0, v13
	v_lshlrev_b32_e32 v11, 30, v11
	v_cndmask_b32_e64 v9, -v12, v9, s[4:5]
	v_and_b32_e32 v11, 0x80000000, v11
	v_xor_b32_e32 v9, v11, v9
	s_mov_b32 s4, 0xf800000
	v_cndmask_b32_e32 v8, v8, v9, vcc
	v_mul_f32_e32 v9, 0x4f800000, v4
	v_cmp_gt_f32_e32 vcc, s4, v4
	v_cndmask_b32_e32 v4, v4, v9, vcc
	v_sqrt_f32_e32 v9, v4
	v_mul_f32_e32 v3, v3, v8
	v_fmac_f32_e32 v3, v14, v2
	v_mul_f32_e32 v2, 0x3f4c422a, v3
	v_add_u32_e32 v3, -1, v9
	v_fma_f32 v8, -v3, v9, v4
	v_cmp_ge_f32_e64 s[4:5], 0, v8
	v_add_u32_e32 v8, 1, v9
	v_cndmask_b32_e64 v3, v9, v3, s[4:5]
	v_fma_f32 v9, -v8, v9, v4
	v_cmp_lt_f32_e64 s[4:5], 0, v9
	v_cndmask_b32_e64 v3, v3, v8, s[4:5]
	v_mul_f32_e32 v8, 0x37800000, v3
	v_cndmask_b32_e32 v3, v3, v8, vcc
	v_mov_b32_e32 v8, 0x260
	v_cmp_class_f32_e32 vcc, v4, v8
	v_cndmask_b32_e32 v3, v3, v4, vcc
	v_div_scale_f32 v4, s[4:5], v3, v3, v2
	v_div_scale_f32 v8, vcc, v2, v3, v2
	v_rcp_f32_e32 v9, v4
	v_fma_f32 v11, -v4, v9, 1.0
	v_fmac_f32_e32 v9, v11, v9
	v_mul_f32_e32 v11, v8, v9
	v_fma_f32 v12, -v4, v11, v8
	v_fmac_f32_e32 v11, v12, v9
	v_fma_f32 v4, -v4, v11, v8
	v_div_fmas_f32 v4, v4, v9, v11
	v_div_fixup_f32 v8, v4, v3, v2
.LBB13_60:
	s_or_b64 exec, exec, s[12:13]
	s_mov_b32 s4, 0x40a00000
	v_cmp_ge_f32_e32 vcc, s4, v5
	s_and_saveexec_b64 s[4:5], vcc
	s_xor_b64 s[6:7], exec, s[4:5]
	s_cbranch_execz .LBB13_70
; %bb.61:
	v_cmp_neq_f32_e32 vcc, 0, v5
	v_mov_b32_e32 v9, 0xff800000
	s_and_saveexec_b64 s[8:9], vcc
	s_cbranch_execz .LBB13_69
; %bb.62:
	v_cmp_ngt_f32_e32 vcc, 0, v5
	v_mov_b32_e32 v9, 0x7fc00000
	s_and_saveexec_b64 s[12:13], vcc
	s_cbranch_execz .LBB13_68
; %bb.63:
	v_mul_f32_e32 v2, v5, v5
	s_mov_b32 s4, 0x3727c5ac
	v_mul_f32_e32 v4, 0, v2
	v_cmp_ngt_f32_e32 vcc, s4, v5
                                        ; implicit-def: $vgpr3
	s_and_saveexec_b64 s[4:5], vcc
	s_xor_b64 s[4:5], exec, s[4:5]
	s_cbranch_execz .LBB13_65
; %bb.64:
	v_add_f32_e32 v3, 0xcf8ee29d, v4
	v_mov_b32_e32 v9, 0x53e3ba8e
	v_fmac_f32_e32 v9, v2, v3
	v_mov_b32_e32 v3, 0xd762b0a7
	v_fmac_f32_e32 v3, v2, v9
	v_add_f32_e32 v9, 0x43f9c815, v4
	v_mov_b32_e32 v11, 0x4829b65a
	v_fmac_f32_e32 v11, v2, v9
	v_mov_b32_e32 v9, 0x4c38c9a1
	v_fmac_f32_e32 v9, v2, v11
	;; [unrolled: 2-line block ×8, first 2 shown]
	v_add_f32_e32 v3, 0xc0b90fdc, v2
	v_add_f32_e32 v12, 0xc1f3c525, v2
	v_mul_f32_e32 v3, v3, v12
	v_mul_f32_e32 v3, v3, v9
	v_div_scale_f32 v9, s[14:15], v11, v11, v3
	v_div_scale_f32 v12, vcc, v3, v11, v3
	v_rcp_f32_e32 v13, v9
	v_fma_f32 v14, -v9, v13, 1.0
	v_fmac_f32_e32 v13, v14, v13
	v_mul_f32_e32 v14, v12, v13
	v_fma_f32 v15, -v9, v14, v12
	v_fmac_f32_e32 v14, v15, v13
	v_fma_f32 v9, -v9, v14, v12
	v_div_fmas_f32 v9, v9, v13, v14
	v_div_fixup_f32 v3, v9, v11, v3
.LBB13_65:
	s_andn2_saveexec_b64 s[4:5], s[4:5]
; %bb.66:
	s_mov_b32 s14, 0xbe800000
	v_fma_f32 v3, v2, s14, 1.0
; %bb.67:
	s_or_b64 exec, exec, s[4:5]
	v_add_f32_e32 v9, 0x4673a1bf, v4
	v_mov_b32_e32 v11, 0xcb5fc0fa
	v_fmac_f32_e32 v11, v2, v9
	v_mov_b32_e32 v9, 0x4fa1fbc8
	v_fmac_f32_e32 v9, v2, v11
	;; [unrolled: 2-line block ×6, first 2 shown]
	v_add_f32_e32 v4, 0x44822913, v4
	v_mov_b32_e32 v11, 0x4918dbb5
	v_fmac_f32_e32 v11, v2, v4
	v_mov_b32_e32 v4, 0x4d803b1b
	v_fmac_f32_e32 v4, v2, v11
	;; [unrolled: 2-line block ×7, first 2 shown]
	v_div_scale_f32 v2, s[4:5], v4, v4, v11
	v_div_scale_f32 v9, vcc, v11, v4, v11
	s_mov_b32 s4, 0x800000
	v_rcp_f32_e32 v12, v2
	v_fma_f32 v13, -v2, v12, 1.0
	v_fmac_f32_e32 v12, v13, v12
	v_mul_f32_e32 v13, v9, v12
	v_fma_f32 v14, -v2, v13, v9
	v_fmac_f32_e32 v13, v14, v12
	v_fma_f32 v2, -v2, v13, v9
	v_div_fmas_f32 v2, v2, v12, v13
	v_cmp_gt_f32_e32 vcc, s4, v5
	v_cndmask_b32_e64 v9, 0, 32, vcc
	v_ldexp_f32 v5, v5, v9
	v_log_f32_e32 v5, v5
	s_mov_b32 s4, 0x3f317217
	v_mul_f32_e32 v9, 0x3f317217, v5
	v_fma_f32 v12, v5, s4, -v9
	v_fmac_f32_e32 v12, 0x3377d1cf, v5
	s_mov_b32 s4, 0x7f800000
	v_fmac_f32_e32 v12, 0x3f317217, v5
	v_cmp_lt_f32_e64 s[4:5], |v5|, s4
	v_div_fixup_f32 v9, v2, v4, v11
	v_mov_b32_e32 v4, 0x41b17218
	v_cndmask_b32_e64 v2, v5, v12, s[4:5]
	v_cndmask_b32_e32 v4, 0, v4, vcc
	v_sub_f32_e32 v2, v2, v4
	v_mul_f32_e32 v2, 0x3f22f983, v2
	v_fmac_f32_e32 v9, v2, v3
.LBB13_68:
	s_or_b64 exec, exec, s[12:13]
.LBB13_69:
	s_or_b64 exec, exec, s[8:9]
                                        ; implicit-def: $vgpr2_vgpr3_vgpr4_vgpr5
.LBB13_70:
	s_andn2_saveexec_b64 s[12:13], s[6:7]
	s_cbranch_execz .LBB13_80
; %bb.71:
	v_add_f32_e32 v2, 0xbf490fdb, v5
	v_and_b32_e32 v3, 0x7fffffff, v2
	s_brev_b32 s4, 18
	v_cmp_nlt_f32_e64 s[14:15], |v2|, s4
	v_lshrrev_b32_e32 v13, 23, v3
                                        ; implicit-def: $vgpr4
                                        ; implicit-def: $vgpr9
	s_and_saveexec_b64 s[4:5], s[14:15]
	s_xor_b64 s[16:17], exec, s[4:5]
	s_cbranch_execz .LBB13_73
; %bb.72:
	v_and_b32_e32 v4, 0x7fffff, v3
	v_or_b32_e32 v4, 0x800000, v4
	s_mov_b32 s4, 0xfe5163ab
	v_mad_u64_u32 v[11:12], s[4:5], v4, s4, 0
	v_mov_b32_e32 v15, 0
	s_mov_b32 s4, 0x3c439041
	v_mov_b32_e32 v14, v12
	v_mad_u64_u32 v[16:17], s[4:5], v4, s4, v[14:15]
	s_mov_b32 s4, 0xdb629599
	v_add_u32_e32 v9, 0xffffff88, v13
	v_mov_b32_e32 v14, v17
	v_mad_u64_u32 v[17:18], s[4:5], v4, s4, v[14:15]
	s_mov_b32 s4, 0xf534ddc0
	v_not_b32_e32 v12, 63
	v_mov_b32_e32 v14, v18
	v_mad_u64_u32 v[18:19], s[4:5], v4, s4, v[14:15]
	s_mov_b32 s4, 0xfc2757d1
	v_cmp_lt_u32_e32 vcc, 63, v9
	v_mov_b32_e32 v14, v19
	v_mad_u64_u32 v[19:20], s[4:5], v4, s4, v[14:15]
	s_mov_b32 s4, 0x4e441529
	v_cndmask_b32_e32 v12, 0, v12, vcc
	v_mov_b32_e32 v14, v20
	v_mad_u64_u32 v[20:21], s[4:5], v4, s4, v[14:15]
	v_add_u32_e32 v9, v12, v9
	v_not_b32_e32 v12, 31
	v_cmp_lt_u32_e64 s[4:5], 31, v9
	v_cndmask_b32_e64 v14, 0, v12, s[4:5]
	v_add_u32_e32 v9, v14, v9
	v_mov_b32_e32 v14, v21
	s_mov_b32 s6, 0xa2f9836e
	v_mad_u64_u32 v[14:15], s[6:7], v4, s6, v[14:15]
	v_cmp_lt_u32_e64 s[6:7], 31, v9
	v_cndmask_b32_e64 v4, 0, v12, s[6:7]
	v_add_u32_e32 v4, v4, v9
	v_cndmask_b32_e32 v9, v20, v18, vcc
	v_cndmask_b32_e32 v12, v14, v19, vcc
	;; [unrolled: 1-line block ×3, first 2 shown]
	v_cndmask_b32_e64 v14, v12, v9, s[4:5]
	v_cndmask_b32_e64 v12, v15, v12, s[4:5]
	v_cndmask_b32_e32 v15, v19, v17, vcc
	v_cndmask_b32_e64 v9, v9, v15, s[4:5]
	v_cndmask_b32_e64 v12, v12, v14, s[6:7]
	;; [unrolled: 1-line block ×3, first 2 shown]
	v_sub_u32_e32 v19, 32, v4
	v_alignbit_b32 v20, v12, v14, v19
	v_cmp_eq_u32_e64 s[8:9], 0, v4
	v_cndmask_b32_e64 v4, v20, v12, s[8:9]
	v_cndmask_b32_e32 v12, v18, v16, vcc
	v_cndmask_b32_e64 v15, v15, v12, s[4:5]
	v_cndmask_b32_e64 v9, v9, v15, s[6:7]
	v_cndmask_b32_e32 v11, v17, v11, vcc
	v_alignbit_b32 v16, v14, v9, v19
	v_cndmask_b32_e64 v11, v12, v11, s[4:5]
	v_cndmask_b32_e64 v14, v16, v14, s[8:9]
	v_bfe_u32 v20, v4, 29, 1
	v_cndmask_b32_e64 v11, v15, v11, s[6:7]
	v_alignbit_b32 v16, v4, v14, 30
	v_sub_u32_e32 v21, 0, v20
	v_alignbit_b32 v12, v9, v11, v19
	v_xor_b32_e32 v16, v16, v21
	v_cndmask_b32_e64 v9, v12, v9, s[8:9]
	v_alignbit_b32 v12, v14, v9, 30
	v_ffbh_u32_e32 v14, v16
	v_min_u32_e32 v14, 32, v14
	v_alignbit_b32 v9, v9, v11, 30
	v_xor_b32_e32 v12, v12, v21
	v_sub_u32_e32 v15, 31, v14
	v_xor_b32_e32 v9, v9, v21
	v_alignbit_b32 v16, v16, v12, v15
	v_alignbit_b32 v9, v12, v9, v15
	;; [unrolled: 1-line block ×3, first 2 shown]
	v_ffbh_u32_e32 v12, v11
	v_min_u32_e32 v12, 32, v12
	v_lshrrev_b32_e32 v18, 29, v4
	v_not_b32_e32 v15, v12
	v_alignbit_b32 v9, v11, v9, v15
	v_lshlrev_b32_e32 v11, 31, v18
	v_or_b32_e32 v15, 0x33000000, v11
	v_add_lshl_u32 v12, v12, v14, 23
	v_lshrrev_b32_e32 v9, 9, v9
	v_sub_u32_e32 v12, v15, v12
	v_or_b32_e32 v11, 0.5, v11
	v_lshlrev_b32_e32 v14, 23, v14
	v_or_b32_e32 v9, v12, v9
	v_lshrrev_b32_e32 v12, 9, v16
	v_sub_u32_e32 v11, v11, v14
	v_or_b32_e32 v11, v12, v11
	s_mov_b32 s4, 0x3fc90fda
	v_mul_f32_e32 v12, 0x3fc90fda, v11
	v_fma_f32 v14, v11, s4, -v12
	v_fmac_f32_e32 v14, 0x33a22168, v11
	v_fmac_f32_e32 v14, 0x3fc90fda, v9
	v_lshrrev_b32_e32 v4, 30, v4
	v_add_f32_e32 v9, v12, v14
	v_add_u32_e32 v4, v20, v4
	s_andn2_saveexec_b64 s[4:5], s[16:17]
	s_cbranch_execz .LBB13_75
	s_branch .LBB13_74
.LBB13_73:
	s_andn2_saveexec_b64 s[4:5], s[16:17]
	s_cbranch_execz .LBB13_75
.LBB13_74:
	s_mov_b32 s6, 0x3f22f983
	v_mul_f32_e64 v4, |v2|, s6
	v_rndne_f32_e32 v11, v4
	s_mov_b32 s6, 0xbfc90fda
	v_cvt_i32_f32_e32 v4, v11
	v_fma_f32 v9, v11, s6, |v2|
	v_fmac_f32_e32 v9, 0xb3a22168, v11
	v_fmac_f32_e32 v9, 0xa7c234c4, v11
.LBB13_75:
	s_or_b64 exec, exec, s[4:5]
                                        ; implicit-def: $vgpr11
                                        ; implicit-def: $vgpr12
	s_and_saveexec_b64 s[4:5], s[14:15]
	s_xor_b64 s[14:15], exec, s[4:5]
	s_cbranch_execz .LBB13_77
; %bb.76:
	v_and_b32_e32 v11, 0x7fffff, v3
	v_or_b32_e32 v20, 0x800000, v11
	s_mov_b32 s4, 0xfe5163ab
	v_mad_u64_u32 v[11:12], s[4:5], v20, s4, 0
	v_mov_b32_e32 v15, 0
	s_mov_b32 s4, 0x3c439041
	v_mov_b32_e32 v14, v12
	v_mad_u64_u32 v[16:17], s[4:5], v20, s4, v[14:15]
	s_mov_b32 s4, 0xdb629599
	v_add_u32_e32 v21, 0xffffff88, v13
	v_mov_b32_e32 v14, v17
	v_mad_u64_u32 v[17:18], s[4:5], v20, s4, v[14:15]
	s_mov_b32 s4, 0xf534ddc0
	v_not_b32_e32 v22, 63
	v_mov_b32_e32 v14, v18
	v_mad_u64_u32 v[18:19], s[4:5], v20, s4, v[14:15]
	s_mov_b32 s4, 0xfc2757d1
	v_cmp_lt_u32_e32 vcc, 63, v21
	v_mov_b32_e32 v14, v19
	v_mad_u64_u32 v[12:13], s[4:5], v20, s4, v[14:15]
	v_cndmask_b32_e32 v14, 0, v22, vcc
	v_add_u32_e32 v19, v14, v21
	v_mov_b32_e32 v14, v13
	s_mov_b32 s4, 0x4e441529
	v_mad_u64_u32 v[13:14], s[4:5], v20, s4, v[14:15]
	v_not_b32_e32 v21, 31
	v_cmp_lt_u32_e64 s[4:5], 31, v19
	s_mov_b32 s6, 0xa2f9836e
	v_cndmask_b32_e64 v22, 0, v21, s[4:5]
	v_mad_u64_u32 v[14:15], s[6:7], v20, s6, v[14:15]
	v_add_u32_e32 v19, v22, v19
	v_cmp_lt_u32_e64 s[6:7], 31, v19
	v_cndmask_b32_e64 v20, 0, v21, s[6:7]
	v_add_u32_e32 v19, v20, v19
	v_cndmask_b32_e32 v20, v13, v18, vcc
	v_cndmask_b32_e32 v14, v14, v12, vcc
	;; [unrolled: 1-line block ×4, first 2 shown]
	v_cndmask_b32_e64 v21, v14, v20, s[4:5]
	v_cndmask_b32_e64 v13, v13, v14, s[4:5]
	;; [unrolled: 1-line block ×3, first 2 shown]
	v_cndmask_b32_e32 v16, v18, v16, vcc
	v_cndmask_b32_e64 v13, v13, v21, s[6:7]
	v_cndmask_b32_e64 v15, v21, v14, s[6:7]
	v_sub_u32_e32 v20, 32, v19
	v_cndmask_b32_e64 v12, v12, v16, s[4:5]
	v_alignbit_b32 v21, v13, v15, v20
	v_cmp_eq_u32_e64 s[8:9], 0, v19
	v_cndmask_b32_e64 v14, v14, v12, s[6:7]
	v_cndmask_b32_e32 v11, v17, v11, vcc
	v_cndmask_b32_e64 v13, v21, v13, s[8:9]
	v_alignbit_b32 v18, v15, v14, v20
	v_cndmask_b32_e64 v11, v16, v11, s[4:5]
	v_cndmask_b32_e64 v15, v18, v15, s[8:9]
	v_bfe_u32 v21, v13, 29, 1
	v_cndmask_b32_e64 v11, v12, v11, s[6:7]
	v_alignbit_b32 v18, v13, v15, 30
	v_sub_u32_e32 v22, 0, v21
	v_alignbit_b32 v12, v14, v11, v20
	v_xor_b32_e32 v18, v18, v22
	v_cndmask_b32_e64 v12, v12, v14, s[8:9]
	v_alignbit_b32 v14, v15, v12, 30
	v_ffbh_u32_e32 v15, v18
	v_min_u32_e32 v15, 32, v15
	v_alignbit_b32 v11, v12, v11, 30
	v_xor_b32_e32 v14, v14, v22
	v_sub_u32_e32 v16, 31, v15
	v_xor_b32_e32 v11, v11, v22
	v_alignbit_b32 v17, v18, v14, v16
	v_alignbit_b32 v11, v14, v11, v16
	;; [unrolled: 1-line block ×3, first 2 shown]
	v_ffbh_u32_e32 v14, v12
	v_min_u32_e32 v14, 32, v14
	v_lshrrev_b32_e32 v19, 29, v13
	v_not_b32_e32 v16, v14
	v_alignbit_b32 v11, v12, v11, v16
	v_lshlrev_b32_e32 v12, 31, v19
	v_or_b32_e32 v16, 0x33000000, v12
	v_add_lshl_u32 v14, v14, v15, 23
	v_lshrrev_b32_e32 v11, 9, v11
	v_sub_u32_e32 v14, v16, v14
	v_or_b32_e32 v12, 0.5, v12
	v_lshlrev_b32_e32 v15, 23, v15
	v_or_b32_e32 v11, v14, v11
	v_lshrrev_b32_e32 v14, 9, v17
	v_sub_u32_e32 v12, v12, v15
	v_or_b32_e32 v12, v14, v12
	s_mov_b32 s4, 0x3fc90fda
	v_mul_f32_e32 v14, 0x3fc90fda, v12
	v_fma_f32 v15, v12, s4, -v14
	v_fmac_f32_e32 v15, 0x33a22168, v12
	v_fmac_f32_e32 v15, 0x3fc90fda, v11
	v_lshrrev_b32_e32 v11, 30, v13
	v_add_f32_e32 v12, v14, v15
	v_add_u32_e32 v11, v21, v11
	s_andn2_saveexec_b64 s[4:5], s[14:15]
	s_cbranch_execnz .LBB13_78
	s_branch .LBB13_79
.LBB13_77:
	s_andn2_saveexec_b64 s[4:5], s[14:15]
	s_cbranch_execz .LBB13_79
.LBB13_78:
	s_mov_b32 s6, 0x3f22f983
	v_mul_f32_e64 v11, |v2|, s6
	v_rndne_f32_e32 v13, v11
	s_mov_b32 s6, 0xbfc90fda
	v_cvt_i32_f32_e32 v11, v13
	v_fma_f32 v12, v13, s6, |v2|
	v_fmac_f32_e32 v12, 0xb3a22168, v13
	v_fmac_f32_e32 v12, 0xa7c234c4, v13
.LBB13_79:
	s_or_b64 exec, exec, s[4:5]
	v_mul_f32_e32 v13, v5, v5
	s_mov_b32 s6, 0x41c80000
	v_div_scale_f32 v14, s[4:5], v13, v13, s6
	v_div_scale_f32 v15, vcc, s6, v13, s6
	v_mov_b32_e32 v21, 0x3a725406
	v_mov_b32_e32 v22, 0x3daf5e2d
	;; [unrolled: 1-line block ×4, first 2 shown]
	v_xor_b32_e32 v3, v3, v2
	v_rcp_f32_e32 v16, v14
	v_fma_f32 v17, -v14, v16, 1.0
	v_fmac_f32_e32 v16, v17, v16
	v_mul_f32_e32 v17, v15, v16
	v_fma_f32 v18, -v14, v17, v15
	v_fmac_f32_e32 v17, v18, v16
	v_fma_f32 v14, -v14, v17, v15
	v_div_fmas_f32 v14, v14, v16, v17
	v_mov_b32_e32 v15, 0x3a50e985
	v_mov_b32_e32 v16, 0x3da9a586
	;; [unrolled: 1-line block ×4, first 2 shown]
	v_div_fixup_f32 v13, v14, v13, s6
	v_fmac_f32_e32 v15, 0, v13
	v_fmac_f32_e32 v21, 0, v13
	v_mov_b32_e32 v14, 0x3fa07396
	v_fmac_f32_e32 v16, v13, v15
	v_fmac_f32_e32 v22, v13, v21
	v_mov_b32_e32 v15, 0x40af123f
	;; [unrolled: 3-line block ×4, first 2 shown]
	v_fmac_f32_e32 v19, v13, v18
	v_fmac_f32_e32 v21, v13, v15
	v_fmac_f32_e32 v20, v13, v19
	v_fmac_f32_e32 v16, v13, v21
	v_fma_f32 v14, v13, v16, 1.0
	v_fma_f32 v15, v13, v20, 1.0
	v_div_scale_f32 v16, s[4:5], v14, v14, v15
	v_div_scale_f32 v17, vcc, v15, v14, v15
	v_mov_b32_e32 v19, 0xbc3a3a12
	v_mov_b32_e32 v20, 0xbfa429da
	v_fmac_f32_e32 v19, 0, v13
	v_fmac_f32_e32 v20, v13, v19
	v_mov_b32_e32 v19, 0x44561b86
	s_mov_b32 s6, 0x40a00000
	v_rcp_f32_e32 v18, v16
	v_fma_f32 v21, -v16, v18, 1.0
	v_fmac_f32_e32 v18, v21, v18
	v_mul_f32_e32 v21, v17, v18
	v_fma_f32 v22, -v16, v21, v17
	v_fmac_f32_e32 v21, v22, v18
	v_fma_f32 v16, -v16, v21, v17
	v_div_fmas_f32 v16, v16, v18, v21
	v_mov_b32_e32 v21, 0x4280a2ba
	v_mov_b32_e32 v22, 0xc19c6e80
	v_fmac_f32_e32 v21, 0, v13
	v_fmac_f32_e32 v19, v13, v21
	;; [unrolled: 1-line block ×3, first 2 shown]
	v_mov_b32_e32 v20, 0x4572a66e
	v_fmac_f32_e32 v20, v13, v19
	v_div_scale_f32 v19, s[4:5], v5, v5, s6
	v_mov_b32_e32 v17, 0xc2ba697b
	v_mov_b32_e32 v18, 0xc331ae61
	v_fmac_f32_e32 v17, v13, v22
	v_mov_b32_e32 v22, 0x45e243be
	v_mov_b32_e32 v21, 0xc31313d7
	v_fmac_f32_e32 v22, v13, v20
	v_mov_b32_e32 v20, 0x45b955d1
	v_fmac_f32_e32 v18, v13, v17
	v_div_scale_f32 v17, vcc, s6, v5, s6
	v_fmac_f32_e32 v20, v13, v22
	v_mov_b32_e32 v22, 0xc24da463
	v_fmac_f32_e32 v21, v13, v18
	v_mov_b32_e32 v18, 0x4500e17e
	;; [unrolled: 2-line block ×4, first 2 shown]
	v_fmac_f32_e32 v21, v13, v18
	v_fmac_f32_e32 v20, v13, v22
	v_div_scale_f32 v13, s[4:5], v21, v21, v20
	v_rcp_f32_e32 v18, v19
	v_div_fixup_f32 v14, v16, v14, v15
	v_div_scale_f32 v16, s[4:5], v20, v21, v20
	v_fma_f32 v15, -v19, v18, 1.0
	v_fmac_f32_e32 v18, v15, v18
	v_mul_f32_e32 v15, v17, v18
	v_fma_f32 v22, -v19, v15, v17
	v_fmac_f32_e32 v15, v22, v18
	v_fma_f32 v17, -v19, v15, v17
	v_mul_f32_e32 v22, v9, v9
	v_mov_b32_e32 v19, 0x3c0881c4
	v_div_fmas_f32 v15, v17, v18, v15
	v_fmac_f32_e32 v19, 0xb94c1982, v22
	v_rcp_f32_e32 v18, v13
	v_mov_b32_e32 v17, 0xbe2aaa9d
	v_fma_f32 v19, v22, v19, v17
	v_mul_f32_e32 v19, v22, v19
	v_fmac_f32_e32 v9, v9, v19
	v_fma_f32 v19, -v13, v18, 1.0
	v_fmac_f32_e32 v18, v19, v18
	v_mul_f32_e32 v19, v16, v18
	v_fma_f32 v23, -v13, v19, v16
	v_fmac_f32_e32 v19, v23, v18
	v_fma_f32 v13, -v13, v19, v16
	s_mov_b64 vcc, s[4:5]
	v_div_fmas_f32 v13, v13, v18, v19
	v_mov_b32_e32 v16, 0xbab64f3b
	v_fmac_f32_e32 v16, 0x37d75334, v22
	v_mov_b32_e32 v18, 0x3d2aabf7
	v_fma_f32 v16, v22, v16, v18
	v_mov_b32_e32 v19, 0xbf000004
	v_fma_f32 v16, v22, v16, v19
	v_fma_f32 v16, v22, v16, 1.0
	v_and_b32_e32 v22, 1, v4
	v_lshlrev_b32_e32 v4, 30, v4
	v_cmp_eq_u32_e32 vcc, 0, v22
	v_and_b32_e32 v4, 0x80000000, v4
	v_cndmask_b32_e32 v9, v16, v9, vcc
	v_xor_b32_e32 v3, v3, v4
	s_movk_i32 s4, 0x1f8
	v_xor_b32_e32 v3, v3, v9
	v_mov_b32_e32 v4, 0x7fc00000
	v_cmp_class_f32_e64 vcc, v2, s4
	v_cndmask_b32_e32 v2, v4, v3, vcc
	v_div_fixup_f32 v3, v15, v5, s6
	v_div_fixup_f32 v9, v13, v21, v20
	v_mov_b32_e32 v22, 0x3c0881c4
	v_mul_f32_e32 v3, v3, v9
	v_mul_f32_e32 v9, v12, v12
	v_mov_b32_e32 v16, 0xbab64f3b
	v_fmac_f32_e32 v22, 0xb94c1982, v9
	v_fmac_f32_e32 v17, v9, v22
	;; [unrolled: 1-line block ×3, first 2 shown]
	v_mul_f32_e32 v13, v9, v17
	v_fmac_f32_e32 v18, v9, v16
	v_fmac_f32_e32 v12, v12, v13
	;; [unrolled: 1-line block ×3, first 2 shown]
	v_and_b32_e32 v13, 1, v11
	v_fma_f32 v9, v9, v19, 1.0
	v_cmp_eq_u32_e64 s[4:5], 0, v13
	v_lshlrev_b32_e32 v11, 30, v11
	v_cndmask_b32_e64 v9, -v12, v9, s[4:5]
	v_and_b32_e32 v11, 0x80000000, v11
	v_xor_b32_e32 v9, v11, v9
	s_mov_b32 s4, 0xf800000
	v_cndmask_b32_e32 v4, v4, v9, vcc
	v_mul_f32_e32 v9, 0x4f800000, v5
	v_cmp_gt_f32_e32 vcc, s4, v5
	v_cndmask_b32_e32 v5, v5, v9, vcc
	v_sqrt_f32_e32 v9, v5
	v_mul_f32_e32 v3, v3, v4
	v_fmac_f32_e32 v3, v14, v2
	v_mul_f32_e32 v2, 0x3f4c422a, v3
	v_add_u32_e32 v3, -1, v9
	v_fma_f32 v4, -v3, v9, v5
	v_cmp_ge_f32_e64 s[4:5], 0, v4
	v_add_u32_e32 v4, 1, v9
	v_cndmask_b32_e64 v3, v9, v3, s[4:5]
	v_fma_f32 v9, -v4, v9, v5
	v_cmp_lt_f32_e64 s[4:5], 0, v9
	v_cndmask_b32_e64 v3, v3, v4, s[4:5]
	v_mul_f32_e32 v4, 0x37800000, v3
	v_cndmask_b32_e32 v3, v3, v4, vcc
	v_mov_b32_e32 v4, 0x260
	v_cmp_class_f32_e32 vcc, v5, v4
	v_cndmask_b32_e32 v3, v3, v5, vcc
	v_div_scale_f32 v4, s[4:5], v3, v3, v2
	v_div_scale_f32 v5, vcc, v2, v3, v2
	v_rcp_f32_e32 v9, v4
	v_fma_f32 v11, -v4, v9, 1.0
	v_fmac_f32_e32 v9, v11, v9
	v_mul_f32_e32 v11, v5, v9
	v_fma_f32 v12, -v4, v11, v5
	v_fmac_f32_e32 v11, v12, v9
	v_fma_f32 v4, -v4, v11, v5
	v_div_fmas_f32 v4, v4, v9, v11
	v_div_fixup_f32 v9, v4, v3, v2
.LBB13_80:
	s_or_b64 exec, exec, s[12:13]
	v_mov_b32_e32 v2, s11
	v_add_co_u32_e32 v0, vcc, s10, v0
	v_addc_co_u32_e32 v1, vcc, v1, v2, vcc
	v_add_co_u32_e32 v0, vcc, v0, v10
	v_addc_co_u32_e32 v1, vcc, 0, v1, vcc
	flat_store_dwordx4 v[0:1], v[6:9]
	s_waitcnt vmcnt(0) lgkmcnt(0)
	s_setpc_b64 s[30:31]
.Lfunc_end13:
	.size	_ZN2at6native25elementwise_kernel_helperILb0EZZZNS0_12_GLOBAL__N_121bessel_y0_kernel_cudaERNS_18TensorIteratorBaseEENKUlvE_clEvENKUlvE0_clEvEUlfE_NS0_6memory8policies10vectorizedILi4ESt5arrayIPcLm2EELi4EEEEEvT0_T1_, .Lfunc_end13-_ZN2at6native25elementwise_kernel_helperILb0EZZZNS0_12_GLOBAL__N_121bessel_y0_kernel_cudaERNS_18TensorIteratorBaseEENKUlvE_clEvENKUlvE0_clEvEUlfE_NS0_6memory8policies10vectorizedILi4ESt5arrayIPcLm2EELi4EEEEEvT0_T1_
                                        ; -- End function
	.set .L_ZN2at6native25elementwise_kernel_helperILb0EZZZNS0_12_GLOBAL__N_121bessel_y0_kernel_cudaERNS_18TensorIteratorBaseEENKUlvE_clEvENKUlvE0_clEvEUlfE_NS0_6memory8policies10vectorizedILi4ESt5arrayIPcLm2EELi4EEEEEvT0_T1_.num_vgpr, 32
	.set .L_ZN2at6native25elementwise_kernel_helperILb0EZZZNS0_12_GLOBAL__N_121bessel_y0_kernel_cudaERNS_18TensorIteratorBaseEENKUlvE_clEvENKUlvE0_clEvEUlfE_NS0_6memory8policies10vectorizedILi4ESt5arrayIPcLm2EELi4EEEEEvT0_T1_.num_agpr, 0
	.set .L_ZN2at6native25elementwise_kernel_helperILb0EZZZNS0_12_GLOBAL__N_121bessel_y0_kernel_cudaERNS_18TensorIteratorBaseEENKUlvE_clEvENKUlvE0_clEvEUlfE_NS0_6memory8policies10vectorizedILi4ESt5arrayIPcLm2EELi4EEEEEvT0_T1_.numbered_sgpr, 32
	.set .L_ZN2at6native25elementwise_kernel_helperILb0EZZZNS0_12_GLOBAL__N_121bessel_y0_kernel_cudaERNS_18TensorIteratorBaseEENKUlvE_clEvENKUlvE0_clEvEUlfE_NS0_6memory8policies10vectorizedILi4ESt5arrayIPcLm2EELi4EEEEEvT0_T1_.num_named_barrier, 0
	.set .L_ZN2at6native25elementwise_kernel_helperILb0EZZZNS0_12_GLOBAL__N_121bessel_y0_kernel_cudaERNS_18TensorIteratorBaseEENKUlvE_clEvENKUlvE0_clEvEUlfE_NS0_6memory8policies10vectorizedILi4ESt5arrayIPcLm2EELi4EEEEEvT0_T1_.private_seg_size, 0
	.set .L_ZN2at6native25elementwise_kernel_helperILb0EZZZNS0_12_GLOBAL__N_121bessel_y0_kernel_cudaERNS_18TensorIteratorBaseEENKUlvE_clEvENKUlvE0_clEvEUlfE_NS0_6memory8policies10vectorizedILi4ESt5arrayIPcLm2EELi4EEEEEvT0_T1_.uses_vcc, 1
	.set .L_ZN2at6native25elementwise_kernel_helperILb0EZZZNS0_12_GLOBAL__N_121bessel_y0_kernel_cudaERNS_18TensorIteratorBaseEENKUlvE_clEvENKUlvE0_clEvEUlfE_NS0_6memory8policies10vectorizedILi4ESt5arrayIPcLm2EELi4EEEEEvT0_T1_.uses_flat_scratch, 0
	.set .L_ZN2at6native25elementwise_kernel_helperILb0EZZZNS0_12_GLOBAL__N_121bessel_y0_kernel_cudaERNS_18TensorIteratorBaseEENKUlvE_clEvENKUlvE0_clEvEUlfE_NS0_6memory8policies10vectorizedILi4ESt5arrayIPcLm2EELi4EEEEEvT0_T1_.has_dyn_sized_stack, 0
	.set .L_ZN2at6native25elementwise_kernel_helperILb0EZZZNS0_12_GLOBAL__N_121bessel_y0_kernel_cudaERNS_18TensorIteratorBaseEENKUlvE_clEvENKUlvE0_clEvEUlfE_NS0_6memory8policies10vectorizedILi4ESt5arrayIPcLm2EELi4EEEEEvT0_T1_.has_recursion, 0
	.set .L_ZN2at6native25elementwise_kernel_helperILb0EZZZNS0_12_GLOBAL__N_121bessel_y0_kernel_cudaERNS_18TensorIteratorBaseEENKUlvE_clEvENKUlvE0_clEvEUlfE_NS0_6memory8policies10vectorizedILi4ESt5arrayIPcLm2EELi4EEEEEvT0_T1_.has_indirect_call, 0
	.section	.AMDGPU.csdata,"",@progbits
; Function info:
; codeLenInByte = 13120
; TotalNumSgprs: 36
; NumVgprs: 32
; ScratchSize: 0
; MemoryBound: 0
	.section	.text._ZN2at6native29vectorized_elementwise_kernelILi16EZZZNS0_12_GLOBAL__N_121bessel_y0_kernel_cudaERNS_18TensorIteratorBaseEENKUlvE_clEvENKUlvE0_clEvEUlfE_St5arrayIPcLm2EEEEviT0_T1_,"axG",@progbits,_ZN2at6native29vectorized_elementwise_kernelILi16EZZZNS0_12_GLOBAL__N_121bessel_y0_kernel_cudaERNS_18TensorIteratorBaseEENKUlvE_clEvENKUlvE0_clEvEUlfE_St5arrayIPcLm2EEEEviT0_T1_,comdat
	.globl	_ZN2at6native29vectorized_elementwise_kernelILi16EZZZNS0_12_GLOBAL__N_121bessel_y0_kernel_cudaERNS_18TensorIteratorBaseEENKUlvE_clEvENKUlvE0_clEvEUlfE_St5arrayIPcLm2EEEEviT0_T1_ ; -- Begin function _ZN2at6native29vectorized_elementwise_kernelILi16EZZZNS0_12_GLOBAL__N_121bessel_y0_kernel_cudaERNS_18TensorIteratorBaseEENKUlvE_clEvENKUlvE0_clEvEUlfE_St5arrayIPcLm2EEEEviT0_T1_
	.p2align	8
	.type	_ZN2at6native29vectorized_elementwise_kernelILi16EZZZNS0_12_GLOBAL__N_121bessel_y0_kernel_cudaERNS_18TensorIteratorBaseEENKUlvE_clEvENKUlvE0_clEvEUlfE_St5arrayIPcLm2EEEEviT0_T1_,@function
_ZN2at6native29vectorized_elementwise_kernelILi16EZZZNS0_12_GLOBAL__N_121bessel_y0_kernel_cudaERNS_18TensorIteratorBaseEENKUlvE_clEvENKUlvE0_clEvEUlfE_St5arrayIPcLm2EEEEviT0_T1_: ; @_ZN2at6native29vectorized_elementwise_kernelILi16EZZZNS0_12_GLOBAL__N_121bessel_y0_kernel_cudaERNS_18TensorIteratorBaseEENKUlvE_clEvENKUlvE0_clEvEUlfE_St5arrayIPcLm2EEEEviT0_T1_
; %bb.0:
	s_mov_b32 s18, s6
	s_load_dword s6, s[4:5], 0x0
	s_load_dwordx4 s[20:23], s[4:5], 0x8
	s_add_u32 s0, s0, s7
	s_addc_u32 s1, s1, 0
	s_lshl_b32 s4, s18, 10
	s_waitcnt lgkmcnt(0)
	s_sub_i32 s19, s6, s4
	v_mov_b32_e32 v31, v0
	s_cmpk_gt_i32 s19, 0x3ff
	s_mov_b64 s[4:5], -1
	s_mov_b32 s32, 0
	s_cbranch_scc1 .LBB14_3
; %bb.1:
	s_andn2_b64 vcc, exec, s[4:5]
	s_cbranch_vccz .LBB14_4
.LBB14_2:
	s_endpgm
.LBB14_3:
	s_getpc_b64 s[4:5]
	s_add_u32 s4, s4, _ZN2at6native25elementwise_kernel_helperILb0EZZZNS0_12_GLOBAL__N_121bessel_y0_kernel_cudaERNS_18TensorIteratorBaseEENKUlvE_clEvENKUlvE0_clEvEUlfE_NS0_6memory8policies10vectorizedILi4ESt5arrayIPcLm2EELi4EEEEEvT0_T1_@rel32@lo+4
	s_addc_u32 s5, s5, _ZN2at6native25elementwise_kernel_helperILb0EZZZNS0_12_GLOBAL__N_121bessel_y0_kernel_cudaERNS_18TensorIteratorBaseEENKUlvE_clEvENKUlvE0_clEvEUlfE_NS0_6memory8policies10vectorizedILi4ESt5arrayIPcLm2EELi4EEEEEvT0_T1_@rel32@hi+12
	s_mov_b32 s12, s18
	v_mov_b32_e32 v0, s20
	v_mov_b32_e32 v1, s21
	;; [unrolled: 1-line block ×4, first 2 shown]
	s_swappc_b64 s[30:31], s[4:5]
	s_cbranch_execnz .LBB14_2
.LBB14_4:
	s_getpc_b64 s[4:5]
	s_add_u32 s4, s4, _ZN2at6native25elementwise_kernel_helperILb0EZZZNS0_12_GLOBAL__N_121bessel_y0_kernel_cudaERNS_18TensorIteratorBaseEENKUlvE_clEvENKUlvE0_clEvEUlfE_NS0_6memory8policies11unroll_baseILi256ESt5arrayIPcLm2EE23TrivialOffsetCalculatorILi1EjESF_NS8_15LoadWithoutCastENS8_16StoreWithoutCastELi4ELi1EEEEEvT0_T1_@rel32@lo+4
	s_addc_u32 s5, s5, _ZN2at6native25elementwise_kernel_helperILb0EZZZNS0_12_GLOBAL__N_121bessel_y0_kernel_cudaERNS_18TensorIteratorBaseEENKUlvE_clEvENKUlvE0_clEvEUlfE_NS0_6memory8policies11unroll_baseILi256ESt5arrayIPcLm2EE23TrivialOffsetCalculatorILi1EjESF_NS8_15LoadWithoutCastENS8_16StoreWithoutCastELi4ELi1EEEEEvT0_T1_@rel32@hi+12
	s_mov_b32 s12, s18
	v_mov_b32_e32 v0, s20
	v_mov_b32_e32 v1, s21
	;; [unrolled: 1-line block ×5, first 2 shown]
	s_swappc_b64 s[30:31], s[4:5]
	s_endpgm
	.section	.rodata,"a",@progbits
	.p2align	6, 0x0
	.amdhsa_kernel _ZN2at6native29vectorized_elementwise_kernelILi16EZZZNS0_12_GLOBAL__N_121bessel_y0_kernel_cudaERNS_18TensorIteratorBaseEENKUlvE_clEvENKUlvE0_clEvEUlfE_St5arrayIPcLm2EEEEviT0_T1_
		.amdhsa_group_segment_fixed_size 0
		.amdhsa_private_segment_fixed_size 0
		.amdhsa_kernarg_size 24
		.amdhsa_user_sgpr_count 6
		.amdhsa_user_sgpr_private_segment_buffer 1
		.amdhsa_user_sgpr_dispatch_ptr 0
		.amdhsa_user_sgpr_queue_ptr 0
		.amdhsa_user_sgpr_kernarg_segment_ptr 1
		.amdhsa_user_sgpr_dispatch_id 0
		.amdhsa_user_sgpr_flat_scratch_init 0
		.amdhsa_user_sgpr_private_segment_size 0
		.amdhsa_uses_dynamic_stack 0
		.amdhsa_system_sgpr_private_segment_wavefront_offset 0
		.amdhsa_system_sgpr_workgroup_id_x 1
		.amdhsa_system_sgpr_workgroup_id_y 0
		.amdhsa_system_sgpr_workgroup_id_z 0
		.amdhsa_system_sgpr_workgroup_info 0
		.amdhsa_system_vgpr_workitem_id 0
		.amdhsa_next_free_vgpr 32
		.amdhsa_next_free_sgpr 33
		.amdhsa_reserve_vcc 1
		.amdhsa_reserve_flat_scratch 0
		.amdhsa_float_round_mode_32 0
		.amdhsa_float_round_mode_16_64 0
		.amdhsa_float_denorm_mode_32 3
		.amdhsa_float_denorm_mode_16_64 3
		.amdhsa_dx10_clamp 1
		.amdhsa_ieee_mode 1
		.amdhsa_fp16_overflow 0
		.amdhsa_exception_fp_ieee_invalid_op 0
		.amdhsa_exception_fp_denorm_src 0
		.amdhsa_exception_fp_ieee_div_zero 0
		.amdhsa_exception_fp_ieee_overflow 0
		.amdhsa_exception_fp_ieee_underflow 0
		.amdhsa_exception_fp_ieee_inexact 0
		.amdhsa_exception_int_div_zero 0
	.end_amdhsa_kernel
	.section	.text._ZN2at6native29vectorized_elementwise_kernelILi16EZZZNS0_12_GLOBAL__N_121bessel_y0_kernel_cudaERNS_18TensorIteratorBaseEENKUlvE_clEvENKUlvE0_clEvEUlfE_St5arrayIPcLm2EEEEviT0_T1_,"axG",@progbits,_ZN2at6native29vectorized_elementwise_kernelILi16EZZZNS0_12_GLOBAL__N_121bessel_y0_kernel_cudaERNS_18TensorIteratorBaseEENKUlvE_clEvENKUlvE0_clEvEUlfE_St5arrayIPcLm2EEEEviT0_T1_,comdat
.Lfunc_end14:
	.size	_ZN2at6native29vectorized_elementwise_kernelILi16EZZZNS0_12_GLOBAL__N_121bessel_y0_kernel_cudaERNS_18TensorIteratorBaseEENKUlvE_clEvENKUlvE0_clEvEUlfE_St5arrayIPcLm2EEEEviT0_T1_, .Lfunc_end14-_ZN2at6native29vectorized_elementwise_kernelILi16EZZZNS0_12_GLOBAL__N_121bessel_y0_kernel_cudaERNS_18TensorIteratorBaseEENKUlvE_clEvENKUlvE0_clEvEUlfE_St5arrayIPcLm2EEEEviT0_T1_
                                        ; -- End function
	.set _ZN2at6native29vectorized_elementwise_kernelILi16EZZZNS0_12_GLOBAL__N_121bessel_y0_kernel_cudaERNS_18TensorIteratorBaseEENKUlvE_clEvENKUlvE0_clEvEUlfE_St5arrayIPcLm2EEEEviT0_T1_.num_vgpr, max(32, .L_ZN2at6native25elementwise_kernel_helperILb0EZZZNS0_12_GLOBAL__N_121bessel_y0_kernel_cudaERNS_18TensorIteratorBaseEENKUlvE_clEvENKUlvE0_clEvEUlfE_NS0_6memory8policies10vectorizedILi4ESt5arrayIPcLm2EELi4EEEEEvT0_T1_.num_vgpr, .L_ZN2at6native25elementwise_kernel_helperILb0EZZZNS0_12_GLOBAL__N_121bessel_y0_kernel_cudaERNS_18TensorIteratorBaseEENKUlvE_clEvENKUlvE0_clEvEUlfE_NS0_6memory8policies11unroll_baseILi256ESt5arrayIPcLm2EE23TrivialOffsetCalculatorILi1EjESF_NS8_15LoadWithoutCastENS8_16StoreWithoutCastELi4ELi1EEEEEvT0_T1_.num_vgpr)
	.set _ZN2at6native29vectorized_elementwise_kernelILi16EZZZNS0_12_GLOBAL__N_121bessel_y0_kernel_cudaERNS_18TensorIteratorBaseEENKUlvE_clEvENKUlvE0_clEvEUlfE_St5arrayIPcLm2EEEEviT0_T1_.num_agpr, max(0, .L_ZN2at6native25elementwise_kernel_helperILb0EZZZNS0_12_GLOBAL__N_121bessel_y0_kernel_cudaERNS_18TensorIteratorBaseEENKUlvE_clEvENKUlvE0_clEvEUlfE_NS0_6memory8policies10vectorizedILi4ESt5arrayIPcLm2EELi4EEEEEvT0_T1_.num_agpr, .L_ZN2at6native25elementwise_kernel_helperILb0EZZZNS0_12_GLOBAL__N_121bessel_y0_kernel_cudaERNS_18TensorIteratorBaseEENKUlvE_clEvENKUlvE0_clEvEUlfE_NS0_6memory8policies11unroll_baseILi256ESt5arrayIPcLm2EE23TrivialOffsetCalculatorILi1EjESF_NS8_15LoadWithoutCastENS8_16StoreWithoutCastELi4ELi1EEEEEvT0_T1_.num_agpr)
	.set _ZN2at6native29vectorized_elementwise_kernelILi16EZZZNS0_12_GLOBAL__N_121bessel_y0_kernel_cudaERNS_18TensorIteratorBaseEENKUlvE_clEvENKUlvE0_clEvEUlfE_St5arrayIPcLm2EEEEviT0_T1_.numbered_sgpr, max(33, .L_ZN2at6native25elementwise_kernel_helperILb0EZZZNS0_12_GLOBAL__N_121bessel_y0_kernel_cudaERNS_18TensorIteratorBaseEENKUlvE_clEvENKUlvE0_clEvEUlfE_NS0_6memory8policies10vectorizedILi4ESt5arrayIPcLm2EELi4EEEEEvT0_T1_.numbered_sgpr, .L_ZN2at6native25elementwise_kernel_helperILb0EZZZNS0_12_GLOBAL__N_121bessel_y0_kernel_cudaERNS_18TensorIteratorBaseEENKUlvE_clEvENKUlvE0_clEvEUlfE_NS0_6memory8policies11unroll_baseILi256ESt5arrayIPcLm2EE23TrivialOffsetCalculatorILi1EjESF_NS8_15LoadWithoutCastENS8_16StoreWithoutCastELi4ELi1EEEEEvT0_T1_.numbered_sgpr)
	.set _ZN2at6native29vectorized_elementwise_kernelILi16EZZZNS0_12_GLOBAL__N_121bessel_y0_kernel_cudaERNS_18TensorIteratorBaseEENKUlvE_clEvENKUlvE0_clEvEUlfE_St5arrayIPcLm2EEEEviT0_T1_.num_named_barrier, max(0, .L_ZN2at6native25elementwise_kernel_helperILb0EZZZNS0_12_GLOBAL__N_121bessel_y0_kernel_cudaERNS_18TensorIteratorBaseEENKUlvE_clEvENKUlvE0_clEvEUlfE_NS0_6memory8policies10vectorizedILi4ESt5arrayIPcLm2EELi4EEEEEvT0_T1_.num_named_barrier, .L_ZN2at6native25elementwise_kernel_helperILb0EZZZNS0_12_GLOBAL__N_121bessel_y0_kernel_cudaERNS_18TensorIteratorBaseEENKUlvE_clEvENKUlvE0_clEvEUlfE_NS0_6memory8policies11unroll_baseILi256ESt5arrayIPcLm2EE23TrivialOffsetCalculatorILi1EjESF_NS8_15LoadWithoutCastENS8_16StoreWithoutCastELi4ELi1EEEEEvT0_T1_.num_named_barrier)
	.set _ZN2at6native29vectorized_elementwise_kernelILi16EZZZNS0_12_GLOBAL__N_121bessel_y0_kernel_cudaERNS_18TensorIteratorBaseEENKUlvE_clEvENKUlvE0_clEvEUlfE_St5arrayIPcLm2EEEEviT0_T1_.private_seg_size, 0+max(.L_ZN2at6native25elementwise_kernel_helperILb0EZZZNS0_12_GLOBAL__N_121bessel_y0_kernel_cudaERNS_18TensorIteratorBaseEENKUlvE_clEvENKUlvE0_clEvEUlfE_NS0_6memory8policies10vectorizedILi4ESt5arrayIPcLm2EELi4EEEEEvT0_T1_.private_seg_size, .L_ZN2at6native25elementwise_kernel_helperILb0EZZZNS0_12_GLOBAL__N_121bessel_y0_kernel_cudaERNS_18TensorIteratorBaseEENKUlvE_clEvENKUlvE0_clEvEUlfE_NS0_6memory8policies11unroll_baseILi256ESt5arrayIPcLm2EE23TrivialOffsetCalculatorILi1EjESF_NS8_15LoadWithoutCastENS8_16StoreWithoutCastELi4ELi1EEEEEvT0_T1_.private_seg_size)
	.set _ZN2at6native29vectorized_elementwise_kernelILi16EZZZNS0_12_GLOBAL__N_121bessel_y0_kernel_cudaERNS_18TensorIteratorBaseEENKUlvE_clEvENKUlvE0_clEvEUlfE_St5arrayIPcLm2EEEEviT0_T1_.uses_vcc, or(1, .L_ZN2at6native25elementwise_kernel_helperILb0EZZZNS0_12_GLOBAL__N_121bessel_y0_kernel_cudaERNS_18TensorIteratorBaseEENKUlvE_clEvENKUlvE0_clEvEUlfE_NS0_6memory8policies10vectorizedILi4ESt5arrayIPcLm2EELi4EEEEEvT0_T1_.uses_vcc, .L_ZN2at6native25elementwise_kernel_helperILb0EZZZNS0_12_GLOBAL__N_121bessel_y0_kernel_cudaERNS_18TensorIteratorBaseEENKUlvE_clEvENKUlvE0_clEvEUlfE_NS0_6memory8policies11unroll_baseILi256ESt5arrayIPcLm2EE23TrivialOffsetCalculatorILi1EjESF_NS8_15LoadWithoutCastENS8_16StoreWithoutCastELi4ELi1EEEEEvT0_T1_.uses_vcc)
	.set _ZN2at6native29vectorized_elementwise_kernelILi16EZZZNS0_12_GLOBAL__N_121bessel_y0_kernel_cudaERNS_18TensorIteratorBaseEENKUlvE_clEvENKUlvE0_clEvEUlfE_St5arrayIPcLm2EEEEviT0_T1_.uses_flat_scratch, or(0, .L_ZN2at6native25elementwise_kernel_helperILb0EZZZNS0_12_GLOBAL__N_121bessel_y0_kernel_cudaERNS_18TensorIteratorBaseEENKUlvE_clEvENKUlvE0_clEvEUlfE_NS0_6memory8policies10vectorizedILi4ESt5arrayIPcLm2EELi4EEEEEvT0_T1_.uses_flat_scratch, .L_ZN2at6native25elementwise_kernel_helperILb0EZZZNS0_12_GLOBAL__N_121bessel_y0_kernel_cudaERNS_18TensorIteratorBaseEENKUlvE_clEvENKUlvE0_clEvEUlfE_NS0_6memory8policies11unroll_baseILi256ESt5arrayIPcLm2EE23TrivialOffsetCalculatorILi1EjESF_NS8_15LoadWithoutCastENS8_16StoreWithoutCastELi4ELi1EEEEEvT0_T1_.uses_flat_scratch)
	.set _ZN2at6native29vectorized_elementwise_kernelILi16EZZZNS0_12_GLOBAL__N_121bessel_y0_kernel_cudaERNS_18TensorIteratorBaseEENKUlvE_clEvENKUlvE0_clEvEUlfE_St5arrayIPcLm2EEEEviT0_T1_.has_dyn_sized_stack, or(0, .L_ZN2at6native25elementwise_kernel_helperILb0EZZZNS0_12_GLOBAL__N_121bessel_y0_kernel_cudaERNS_18TensorIteratorBaseEENKUlvE_clEvENKUlvE0_clEvEUlfE_NS0_6memory8policies10vectorizedILi4ESt5arrayIPcLm2EELi4EEEEEvT0_T1_.has_dyn_sized_stack, .L_ZN2at6native25elementwise_kernel_helperILb0EZZZNS0_12_GLOBAL__N_121bessel_y0_kernel_cudaERNS_18TensorIteratorBaseEENKUlvE_clEvENKUlvE0_clEvEUlfE_NS0_6memory8policies11unroll_baseILi256ESt5arrayIPcLm2EE23TrivialOffsetCalculatorILi1EjESF_NS8_15LoadWithoutCastENS8_16StoreWithoutCastELi4ELi1EEEEEvT0_T1_.has_dyn_sized_stack)
	.set _ZN2at6native29vectorized_elementwise_kernelILi16EZZZNS0_12_GLOBAL__N_121bessel_y0_kernel_cudaERNS_18TensorIteratorBaseEENKUlvE_clEvENKUlvE0_clEvEUlfE_St5arrayIPcLm2EEEEviT0_T1_.has_recursion, or(0, .L_ZN2at6native25elementwise_kernel_helperILb0EZZZNS0_12_GLOBAL__N_121bessel_y0_kernel_cudaERNS_18TensorIteratorBaseEENKUlvE_clEvENKUlvE0_clEvEUlfE_NS0_6memory8policies10vectorizedILi4ESt5arrayIPcLm2EELi4EEEEEvT0_T1_.has_recursion, .L_ZN2at6native25elementwise_kernel_helperILb0EZZZNS0_12_GLOBAL__N_121bessel_y0_kernel_cudaERNS_18TensorIteratorBaseEENKUlvE_clEvENKUlvE0_clEvEUlfE_NS0_6memory8policies11unroll_baseILi256ESt5arrayIPcLm2EE23TrivialOffsetCalculatorILi1EjESF_NS8_15LoadWithoutCastENS8_16StoreWithoutCastELi4ELi1EEEEEvT0_T1_.has_recursion)
	.set _ZN2at6native29vectorized_elementwise_kernelILi16EZZZNS0_12_GLOBAL__N_121bessel_y0_kernel_cudaERNS_18TensorIteratorBaseEENKUlvE_clEvENKUlvE0_clEvEUlfE_St5arrayIPcLm2EEEEviT0_T1_.has_indirect_call, or(0, .L_ZN2at6native25elementwise_kernel_helperILb0EZZZNS0_12_GLOBAL__N_121bessel_y0_kernel_cudaERNS_18TensorIteratorBaseEENKUlvE_clEvENKUlvE0_clEvEUlfE_NS0_6memory8policies10vectorizedILi4ESt5arrayIPcLm2EELi4EEEEEvT0_T1_.has_indirect_call, .L_ZN2at6native25elementwise_kernel_helperILb0EZZZNS0_12_GLOBAL__N_121bessel_y0_kernel_cudaERNS_18TensorIteratorBaseEENKUlvE_clEvENKUlvE0_clEvEUlfE_NS0_6memory8policies11unroll_baseILi256ESt5arrayIPcLm2EE23TrivialOffsetCalculatorILi1EjESF_NS8_15LoadWithoutCastENS8_16StoreWithoutCastELi4ELi1EEEEEvT0_T1_.has_indirect_call)
	.section	.AMDGPU.csdata,"",@progbits
; Kernel info:
; codeLenInByte = 172
; TotalNumSgprs: 37
; NumVgprs: 32
; ScratchSize: 0
; MemoryBound: 0
; FloatMode: 240
; IeeeMode: 1
; LDSByteSize: 0 bytes/workgroup (compile time only)
; SGPRBlocks: 4
; VGPRBlocks: 7
; NumSGPRsForWavesPerEU: 37
; NumVGPRsForWavesPerEU: 32
; Occupancy: 8
; WaveLimiterHint : 0
; COMPUTE_PGM_RSRC2:SCRATCH_EN: 0
; COMPUTE_PGM_RSRC2:USER_SGPR: 6
; COMPUTE_PGM_RSRC2:TRAP_HANDLER: 0
; COMPUTE_PGM_RSRC2:TGID_X_EN: 1
; COMPUTE_PGM_RSRC2:TGID_Y_EN: 0
; COMPUTE_PGM_RSRC2:TGID_Z_EN: 0
; COMPUTE_PGM_RSRC2:TIDIG_COMP_CNT: 0
	.section	.text._ZN2at6native29vectorized_elementwise_kernelILi8EZZZNS0_12_GLOBAL__N_121bessel_y0_kernel_cudaERNS_18TensorIteratorBaseEENKUlvE_clEvENKUlvE0_clEvEUlfE_St5arrayIPcLm2EEEEviT0_T1_,"axG",@progbits,_ZN2at6native29vectorized_elementwise_kernelILi8EZZZNS0_12_GLOBAL__N_121bessel_y0_kernel_cudaERNS_18TensorIteratorBaseEENKUlvE_clEvENKUlvE0_clEvEUlfE_St5arrayIPcLm2EEEEviT0_T1_,comdat
	.globl	_ZN2at6native29vectorized_elementwise_kernelILi8EZZZNS0_12_GLOBAL__N_121bessel_y0_kernel_cudaERNS_18TensorIteratorBaseEENKUlvE_clEvENKUlvE0_clEvEUlfE_St5arrayIPcLm2EEEEviT0_T1_ ; -- Begin function _ZN2at6native29vectorized_elementwise_kernelILi8EZZZNS0_12_GLOBAL__N_121bessel_y0_kernel_cudaERNS_18TensorIteratorBaseEENKUlvE_clEvENKUlvE0_clEvEUlfE_St5arrayIPcLm2EEEEviT0_T1_
	.p2align	8
	.type	_ZN2at6native29vectorized_elementwise_kernelILi8EZZZNS0_12_GLOBAL__N_121bessel_y0_kernel_cudaERNS_18TensorIteratorBaseEENKUlvE_clEvENKUlvE0_clEvEUlfE_St5arrayIPcLm2EEEEviT0_T1_,@function
_ZN2at6native29vectorized_elementwise_kernelILi8EZZZNS0_12_GLOBAL__N_121bessel_y0_kernel_cudaERNS_18TensorIteratorBaseEENKUlvE_clEvENKUlvE0_clEvEUlfE_St5arrayIPcLm2EEEEviT0_T1_: ; @_ZN2at6native29vectorized_elementwise_kernelILi8EZZZNS0_12_GLOBAL__N_121bessel_y0_kernel_cudaERNS_18TensorIteratorBaseEENKUlvE_clEvENKUlvE0_clEvEUlfE_St5arrayIPcLm2EEEEviT0_T1_
; %bb.0:
	s_mov_b32 s18, s6
	s_load_dword s6, s[4:5], 0x0
	s_load_dwordx4 s[20:23], s[4:5], 0x8
	s_add_u32 s0, s0, s7
	s_addc_u32 s1, s1, 0
	s_lshl_b32 s4, s18, 10
	s_waitcnt lgkmcnt(0)
	s_sub_i32 s19, s6, s4
	v_mov_b32_e32 v31, v0
	s_cmpk_gt_i32 s19, 0x3ff
	s_mov_b64 s[4:5], -1
	s_mov_b32 s32, 0
	s_cbranch_scc1 .LBB15_3
; %bb.1:
	s_andn2_b64 vcc, exec, s[4:5]
	s_cbranch_vccz .LBB15_4
.LBB15_2:
	s_endpgm
.LBB15_3:
	s_getpc_b64 s[4:5]
	s_add_u32 s4, s4, _ZN2at6native25elementwise_kernel_helperILb0EZZZNS0_12_GLOBAL__N_121bessel_y0_kernel_cudaERNS_18TensorIteratorBaseEENKUlvE_clEvENKUlvE0_clEvEUlfE_NS0_6memory8policies10vectorizedILi4ESt5arrayIPcLm2EELi4EEEEEvT0_T1_@rel32@lo+4
	s_addc_u32 s5, s5, _ZN2at6native25elementwise_kernel_helperILb0EZZZNS0_12_GLOBAL__N_121bessel_y0_kernel_cudaERNS_18TensorIteratorBaseEENKUlvE_clEvENKUlvE0_clEvEUlfE_NS0_6memory8policies10vectorizedILi4ESt5arrayIPcLm2EELi4EEEEEvT0_T1_@rel32@hi+12
	s_mov_b32 s12, s18
	v_mov_b32_e32 v0, s20
	v_mov_b32_e32 v1, s21
	;; [unrolled: 1-line block ×4, first 2 shown]
	s_swappc_b64 s[30:31], s[4:5]
	s_cbranch_execnz .LBB15_2
.LBB15_4:
	s_getpc_b64 s[4:5]
	s_add_u32 s4, s4, _ZN2at6native25elementwise_kernel_helperILb0EZZZNS0_12_GLOBAL__N_121bessel_y0_kernel_cudaERNS_18TensorIteratorBaseEENKUlvE_clEvENKUlvE0_clEvEUlfE_NS0_6memory8policies11unroll_baseILi256ESt5arrayIPcLm2EE23TrivialOffsetCalculatorILi1EjESF_NS8_15LoadWithoutCastENS8_16StoreWithoutCastELi4ELi1EEEEEvT0_T1_@rel32@lo+4
	s_addc_u32 s5, s5, _ZN2at6native25elementwise_kernel_helperILb0EZZZNS0_12_GLOBAL__N_121bessel_y0_kernel_cudaERNS_18TensorIteratorBaseEENKUlvE_clEvENKUlvE0_clEvEUlfE_NS0_6memory8policies11unroll_baseILi256ESt5arrayIPcLm2EE23TrivialOffsetCalculatorILi1EjESF_NS8_15LoadWithoutCastENS8_16StoreWithoutCastELi4ELi1EEEEEvT0_T1_@rel32@hi+12
	s_mov_b32 s12, s18
	v_mov_b32_e32 v0, s20
	v_mov_b32_e32 v1, s21
	;; [unrolled: 1-line block ×5, first 2 shown]
	s_swappc_b64 s[30:31], s[4:5]
	s_endpgm
	.section	.rodata,"a",@progbits
	.p2align	6, 0x0
	.amdhsa_kernel _ZN2at6native29vectorized_elementwise_kernelILi8EZZZNS0_12_GLOBAL__N_121bessel_y0_kernel_cudaERNS_18TensorIteratorBaseEENKUlvE_clEvENKUlvE0_clEvEUlfE_St5arrayIPcLm2EEEEviT0_T1_
		.amdhsa_group_segment_fixed_size 0
		.amdhsa_private_segment_fixed_size 0
		.amdhsa_kernarg_size 24
		.amdhsa_user_sgpr_count 6
		.amdhsa_user_sgpr_private_segment_buffer 1
		.amdhsa_user_sgpr_dispatch_ptr 0
		.amdhsa_user_sgpr_queue_ptr 0
		.amdhsa_user_sgpr_kernarg_segment_ptr 1
		.amdhsa_user_sgpr_dispatch_id 0
		.amdhsa_user_sgpr_flat_scratch_init 0
		.amdhsa_user_sgpr_private_segment_size 0
		.amdhsa_uses_dynamic_stack 0
		.amdhsa_system_sgpr_private_segment_wavefront_offset 0
		.amdhsa_system_sgpr_workgroup_id_x 1
		.amdhsa_system_sgpr_workgroup_id_y 0
		.amdhsa_system_sgpr_workgroup_id_z 0
		.amdhsa_system_sgpr_workgroup_info 0
		.amdhsa_system_vgpr_workitem_id 0
		.amdhsa_next_free_vgpr 32
		.amdhsa_next_free_sgpr 33
		.amdhsa_reserve_vcc 1
		.amdhsa_reserve_flat_scratch 0
		.amdhsa_float_round_mode_32 0
		.amdhsa_float_round_mode_16_64 0
		.amdhsa_float_denorm_mode_32 3
		.amdhsa_float_denorm_mode_16_64 3
		.amdhsa_dx10_clamp 1
		.amdhsa_ieee_mode 1
		.amdhsa_fp16_overflow 0
		.amdhsa_exception_fp_ieee_invalid_op 0
		.amdhsa_exception_fp_denorm_src 0
		.amdhsa_exception_fp_ieee_div_zero 0
		.amdhsa_exception_fp_ieee_overflow 0
		.amdhsa_exception_fp_ieee_underflow 0
		.amdhsa_exception_fp_ieee_inexact 0
		.amdhsa_exception_int_div_zero 0
	.end_amdhsa_kernel
	.section	.text._ZN2at6native29vectorized_elementwise_kernelILi8EZZZNS0_12_GLOBAL__N_121bessel_y0_kernel_cudaERNS_18TensorIteratorBaseEENKUlvE_clEvENKUlvE0_clEvEUlfE_St5arrayIPcLm2EEEEviT0_T1_,"axG",@progbits,_ZN2at6native29vectorized_elementwise_kernelILi8EZZZNS0_12_GLOBAL__N_121bessel_y0_kernel_cudaERNS_18TensorIteratorBaseEENKUlvE_clEvENKUlvE0_clEvEUlfE_St5arrayIPcLm2EEEEviT0_T1_,comdat
.Lfunc_end15:
	.size	_ZN2at6native29vectorized_elementwise_kernelILi8EZZZNS0_12_GLOBAL__N_121bessel_y0_kernel_cudaERNS_18TensorIteratorBaseEENKUlvE_clEvENKUlvE0_clEvEUlfE_St5arrayIPcLm2EEEEviT0_T1_, .Lfunc_end15-_ZN2at6native29vectorized_elementwise_kernelILi8EZZZNS0_12_GLOBAL__N_121bessel_y0_kernel_cudaERNS_18TensorIteratorBaseEENKUlvE_clEvENKUlvE0_clEvEUlfE_St5arrayIPcLm2EEEEviT0_T1_
                                        ; -- End function
	.set _ZN2at6native29vectorized_elementwise_kernelILi8EZZZNS0_12_GLOBAL__N_121bessel_y0_kernel_cudaERNS_18TensorIteratorBaseEENKUlvE_clEvENKUlvE0_clEvEUlfE_St5arrayIPcLm2EEEEviT0_T1_.num_vgpr, max(32, .L_ZN2at6native25elementwise_kernel_helperILb0EZZZNS0_12_GLOBAL__N_121bessel_y0_kernel_cudaERNS_18TensorIteratorBaseEENKUlvE_clEvENKUlvE0_clEvEUlfE_NS0_6memory8policies10vectorizedILi4ESt5arrayIPcLm2EELi4EEEEEvT0_T1_.num_vgpr, .L_ZN2at6native25elementwise_kernel_helperILb0EZZZNS0_12_GLOBAL__N_121bessel_y0_kernel_cudaERNS_18TensorIteratorBaseEENKUlvE_clEvENKUlvE0_clEvEUlfE_NS0_6memory8policies11unroll_baseILi256ESt5arrayIPcLm2EE23TrivialOffsetCalculatorILi1EjESF_NS8_15LoadWithoutCastENS8_16StoreWithoutCastELi4ELi1EEEEEvT0_T1_.num_vgpr)
	.set _ZN2at6native29vectorized_elementwise_kernelILi8EZZZNS0_12_GLOBAL__N_121bessel_y0_kernel_cudaERNS_18TensorIteratorBaseEENKUlvE_clEvENKUlvE0_clEvEUlfE_St5arrayIPcLm2EEEEviT0_T1_.num_agpr, max(0, .L_ZN2at6native25elementwise_kernel_helperILb0EZZZNS0_12_GLOBAL__N_121bessel_y0_kernel_cudaERNS_18TensorIteratorBaseEENKUlvE_clEvENKUlvE0_clEvEUlfE_NS0_6memory8policies10vectorizedILi4ESt5arrayIPcLm2EELi4EEEEEvT0_T1_.num_agpr, .L_ZN2at6native25elementwise_kernel_helperILb0EZZZNS0_12_GLOBAL__N_121bessel_y0_kernel_cudaERNS_18TensorIteratorBaseEENKUlvE_clEvENKUlvE0_clEvEUlfE_NS0_6memory8policies11unroll_baseILi256ESt5arrayIPcLm2EE23TrivialOffsetCalculatorILi1EjESF_NS8_15LoadWithoutCastENS8_16StoreWithoutCastELi4ELi1EEEEEvT0_T1_.num_agpr)
	.set _ZN2at6native29vectorized_elementwise_kernelILi8EZZZNS0_12_GLOBAL__N_121bessel_y0_kernel_cudaERNS_18TensorIteratorBaseEENKUlvE_clEvENKUlvE0_clEvEUlfE_St5arrayIPcLm2EEEEviT0_T1_.numbered_sgpr, max(33, .L_ZN2at6native25elementwise_kernel_helperILb0EZZZNS0_12_GLOBAL__N_121bessel_y0_kernel_cudaERNS_18TensorIteratorBaseEENKUlvE_clEvENKUlvE0_clEvEUlfE_NS0_6memory8policies10vectorizedILi4ESt5arrayIPcLm2EELi4EEEEEvT0_T1_.numbered_sgpr, .L_ZN2at6native25elementwise_kernel_helperILb0EZZZNS0_12_GLOBAL__N_121bessel_y0_kernel_cudaERNS_18TensorIteratorBaseEENKUlvE_clEvENKUlvE0_clEvEUlfE_NS0_6memory8policies11unroll_baseILi256ESt5arrayIPcLm2EE23TrivialOffsetCalculatorILi1EjESF_NS8_15LoadWithoutCastENS8_16StoreWithoutCastELi4ELi1EEEEEvT0_T1_.numbered_sgpr)
	.set _ZN2at6native29vectorized_elementwise_kernelILi8EZZZNS0_12_GLOBAL__N_121bessel_y0_kernel_cudaERNS_18TensorIteratorBaseEENKUlvE_clEvENKUlvE0_clEvEUlfE_St5arrayIPcLm2EEEEviT0_T1_.num_named_barrier, max(0, .L_ZN2at6native25elementwise_kernel_helperILb0EZZZNS0_12_GLOBAL__N_121bessel_y0_kernel_cudaERNS_18TensorIteratorBaseEENKUlvE_clEvENKUlvE0_clEvEUlfE_NS0_6memory8policies10vectorizedILi4ESt5arrayIPcLm2EELi4EEEEEvT0_T1_.num_named_barrier, .L_ZN2at6native25elementwise_kernel_helperILb0EZZZNS0_12_GLOBAL__N_121bessel_y0_kernel_cudaERNS_18TensorIteratorBaseEENKUlvE_clEvENKUlvE0_clEvEUlfE_NS0_6memory8policies11unroll_baseILi256ESt5arrayIPcLm2EE23TrivialOffsetCalculatorILi1EjESF_NS8_15LoadWithoutCastENS8_16StoreWithoutCastELi4ELi1EEEEEvT0_T1_.num_named_barrier)
	.set _ZN2at6native29vectorized_elementwise_kernelILi8EZZZNS0_12_GLOBAL__N_121bessel_y0_kernel_cudaERNS_18TensorIteratorBaseEENKUlvE_clEvENKUlvE0_clEvEUlfE_St5arrayIPcLm2EEEEviT0_T1_.private_seg_size, 0+max(.L_ZN2at6native25elementwise_kernel_helperILb0EZZZNS0_12_GLOBAL__N_121bessel_y0_kernel_cudaERNS_18TensorIteratorBaseEENKUlvE_clEvENKUlvE0_clEvEUlfE_NS0_6memory8policies10vectorizedILi4ESt5arrayIPcLm2EELi4EEEEEvT0_T1_.private_seg_size, .L_ZN2at6native25elementwise_kernel_helperILb0EZZZNS0_12_GLOBAL__N_121bessel_y0_kernel_cudaERNS_18TensorIteratorBaseEENKUlvE_clEvENKUlvE0_clEvEUlfE_NS0_6memory8policies11unroll_baseILi256ESt5arrayIPcLm2EE23TrivialOffsetCalculatorILi1EjESF_NS8_15LoadWithoutCastENS8_16StoreWithoutCastELi4ELi1EEEEEvT0_T1_.private_seg_size)
	.set _ZN2at6native29vectorized_elementwise_kernelILi8EZZZNS0_12_GLOBAL__N_121bessel_y0_kernel_cudaERNS_18TensorIteratorBaseEENKUlvE_clEvENKUlvE0_clEvEUlfE_St5arrayIPcLm2EEEEviT0_T1_.uses_vcc, or(1, .L_ZN2at6native25elementwise_kernel_helperILb0EZZZNS0_12_GLOBAL__N_121bessel_y0_kernel_cudaERNS_18TensorIteratorBaseEENKUlvE_clEvENKUlvE0_clEvEUlfE_NS0_6memory8policies10vectorizedILi4ESt5arrayIPcLm2EELi4EEEEEvT0_T1_.uses_vcc, .L_ZN2at6native25elementwise_kernel_helperILb0EZZZNS0_12_GLOBAL__N_121bessel_y0_kernel_cudaERNS_18TensorIteratorBaseEENKUlvE_clEvENKUlvE0_clEvEUlfE_NS0_6memory8policies11unroll_baseILi256ESt5arrayIPcLm2EE23TrivialOffsetCalculatorILi1EjESF_NS8_15LoadWithoutCastENS8_16StoreWithoutCastELi4ELi1EEEEEvT0_T1_.uses_vcc)
	.set _ZN2at6native29vectorized_elementwise_kernelILi8EZZZNS0_12_GLOBAL__N_121bessel_y0_kernel_cudaERNS_18TensorIteratorBaseEENKUlvE_clEvENKUlvE0_clEvEUlfE_St5arrayIPcLm2EEEEviT0_T1_.uses_flat_scratch, or(0, .L_ZN2at6native25elementwise_kernel_helperILb0EZZZNS0_12_GLOBAL__N_121bessel_y0_kernel_cudaERNS_18TensorIteratorBaseEENKUlvE_clEvENKUlvE0_clEvEUlfE_NS0_6memory8policies10vectorizedILi4ESt5arrayIPcLm2EELi4EEEEEvT0_T1_.uses_flat_scratch, .L_ZN2at6native25elementwise_kernel_helperILb0EZZZNS0_12_GLOBAL__N_121bessel_y0_kernel_cudaERNS_18TensorIteratorBaseEENKUlvE_clEvENKUlvE0_clEvEUlfE_NS0_6memory8policies11unroll_baseILi256ESt5arrayIPcLm2EE23TrivialOffsetCalculatorILi1EjESF_NS8_15LoadWithoutCastENS8_16StoreWithoutCastELi4ELi1EEEEEvT0_T1_.uses_flat_scratch)
	.set _ZN2at6native29vectorized_elementwise_kernelILi8EZZZNS0_12_GLOBAL__N_121bessel_y0_kernel_cudaERNS_18TensorIteratorBaseEENKUlvE_clEvENKUlvE0_clEvEUlfE_St5arrayIPcLm2EEEEviT0_T1_.has_dyn_sized_stack, or(0, .L_ZN2at6native25elementwise_kernel_helperILb0EZZZNS0_12_GLOBAL__N_121bessel_y0_kernel_cudaERNS_18TensorIteratorBaseEENKUlvE_clEvENKUlvE0_clEvEUlfE_NS0_6memory8policies10vectorizedILi4ESt5arrayIPcLm2EELi4EEEEEvT0_T1_.has_dyn_sized_stack, .L_ZN2at6native25elementwise_kernel_helperILb0EZZZNS0_12_GLOBAL__N_121bessel_y0_kernel_cudaERNS_18TensorIteratorBaseEENKUlvE_clEvENKUlvE0_clEvEUlfE_NS0_6memory8policies11unroll_baseILi256ESt5arrayIPcLm2EE23TrivialOffsetCalculatorILi1EjESF_NS8_15LoadWithoutCastENS8_16StoreWithoutCastELi4ELi1EEEEEvT0_T1_.has_dyn_sized_stack)
	.set _ZN2at6native29vectorized_elementwise_kernelILi8EZZZNS0_12_GLOBAL__N_121bessel_y0_kernel_cudaERNS_18TensorIteratorBaseEENKUlvE_clEvENKUlvE0_clEvEUlfE_St5arrayIPcLm2EEEEviT0_T1_.has_recursion, or(0, .L_ZN2at6native25elementwise_kernel_helperILb0EZZZNS0_12_GLOBAL__N_121bessel_y0_kernel_cudaERNS_18TensorIteratorBaseEENKUlvE_clEvENKUlvE0_clEvEUlfE_NS0_6memory8policies10vectorizedILi4ESt5arrayIPcLm2EELi4EEEEEvT0_T1_.has_recursion, .L_ZN2at6native25elementwise_kernel_helperILb0EZZZNS0_12_GLOBAL__N_121bessel_y0_kernel_cudaERNS_18TensorIteratorBaseEENKUlvE_clEvENKUlvE0_clEvEUlfE_NS0_6memory8policies11unroll_baseILi256ESt5arrayIPcLm2EE23TrivialOffsetCalculatorILi1EjESF_NS8_15LoadWithoutCastENS8_16StoreWithoutCastELi4ELi1EEEEEvT0_T1_.has_recursion)
	.set _ZN2at6native29vectorized_elementwise_kernelILi8EZZZNS0_12_GLOBAL__N_121bessel_y0_kernel_cudaERNS_18TensorIteratorBaseEENKUlvE_clEvENKUlvE0_clEvEUlfE_St5arrayIPcLm2EEEEviT0_T1_.has_indirect_call, or(0, .L_ZN2at6native25elementwise_kernel_helperILb0EZZZNS0_12_GLOBAL__N_121bessel_y0_kernel_cudaERNS_18TensorIteratorBaseEENKUlvE_clEvENKUlvE0_clEvEUlfE_NS0_6memory8policies10vectorizedILi4ESt5arrayIPcLm2EELi4EEEEEvT0_T1_.has_indirect_call, .L_ZN2at6native25elementwise_kernel_helperILb0EZZZNS0_12_GLOBAL__N_121bessel_y0_kernel_cudaERNS_18TensorIteratorBaseEENKUlvE_clEvENKUlvE0_clEvEUlfE_NS0_6memory8policies11unroll_baseILi256ESt5arrayIPcLm2EE23TrivialOffsetCalculatorILi1EjESF_NS8_15LoadWithoutCastENS8_16StoreWithoutCastELi4ELi1EEEEEvT0_T1_.has_indirect_call)
	.section	.AMDGPU.csdata,"",@progbits
; Kernel info:
; codeLenInByte = 172
; TotalNumSgprs: 37
; NumVgprs: 32
; ScratchSize: 0
; MemoryBound: 0
; FloatMode: 240
; IeeeMode: 1
; LDSByteSize: 0 bytes/workgroup (compile time only)
; SGPRBlocks: 4
; VGPRBlocks: 7
; NumSGPRsForWavesPerEU: 37
; NumVGPRsForWavesPerEU: 32
; Occupancy: 8
; WaveLimiterHint : 0
; COMPUTE_PGM_RSRC2:SCRATCH_EN: 0
; COMPUTE_PGM_RSRC2:USER_SGPR: 6
; COMPUTE_PGM_RSRC2:TRAP_HANDLER: 0
; COMPUTE_PGM_RSRC2:TGID_X_EN: 1
; COMPUTE_PGM_RSRC2:TGID_Y_EN: 0
; COMPUTE_PGM_RSRC2:TGID_Z_EN: 0
; COMPUTE_PGM_RSRC2:TIDIG_COMP_CNT: 0
	.section	.text._ZN2at6native29vectorized_elementwise_kernelILi4EZZZNS0_12_GLOBAL__N_121bessel_y0_kernel_cudaERNS_18TensorIteratorBaseEENKUlvE_clEvENKUlvE0_clEvEUlfE_St5arrayIPcLm2EEEEviT0_T1_,"axG",@progbits,_ZN2at6native29vectorized_elementwise_kernelILi4EZZZNS0_12_GLOBAL__N_121bessel_y0_kernel_cudaERNS_18TensorIteratorBaseEENKUlvE_clEvENKUlvE0_clEvEUlfE_St5arrayIPcLm2EEEEviT0_T1_,comdat
	.globl	_ZN2at6native29vectorized_elementwise_kernelILi4EZZZNS0_12_GLOBAL__N_121bessel_y0_kernel_cudaERNS_18TensorIteratorBaseEENKUlvE_clEvENKUlvE0_clEvEUlfE_St5arrayIPcLm2EEEEviT0_T1_ ; -- Begin function _ZN2at6native29vectorized_elementwise_kernelILi4EZZZNS0_12_GLOBAL__N_121bessel_y0_kernel_cudaERNS_18TensorIteratorBaseEENKUlvE_clEvENKUlvE0_clEvEUlfE_St5arrayIPcLm2EEEEviT0_T1_
	.p2align	8
	.type	_ZN2at6native29vectorized_elementwise_kernelILi4EZZZNS0_12_GLOBAL__N_121bessel_y0_kernel_cudaERNS_18TensorIteratorBaseEENKUlvE_clEvENKUlvE0_clEvEUlfE_St5arrayIPcLm2EEEEviT0_T1_,@function
_ZN2at6native29vectorized_elementwise_kernelILi4EZZZNS0_12_GLOBAL__N_121bessel_y0_kernel_cudaERNS_18TensorIteratorBaseEENKUlvE_clEvENKUlvE0_clEvEUlfE_St5arrayIPcLm2EEEEviT0_T1_: ; @_ZN2at6native29vectorized_elementwise_kernelILi4EZZZNS0_12_GLOBAL__N_121bessel_y0_kernel_cudaERNS_18TensorIteratorBaseEENKUlvE_clEvENKUlvE0_clEvEUlfE_St5arrayIPcLm2EEEEviT0_T1_
; %bb.0:
	s_mov_b32 s18, s6
	s_load_dword s6, s[4:5], 0x0
	s_load_dwordx4 s[20:23], s[4:5], 0x8
	s_add_u32 s0, s0, s7
	s_addc_u32 s1, s1, 0
	s_lshl_b32 s4, s18, 10
	s_waitcnt lgkmcnt(0)
	s_sub_i32 s19, s6, s4
	v_mov_b32_e32 v31, v0
	s_cmpk_gt_i32 s19, 0x3ff
	s_mov_b64 s[4:5], -1
	s_mov_b32 s32, 0
	s_cbranch_scc1 .LBB16_3
; %bb.1:
	s_andn2_b64 vcc, exec, s[4:5]
	s_cbranch_vccz .LBB16_4
.LBB16_2:
	s_endpgm
.LBB16_3:
	s_getpc_b64 s[4:5]
	s_add_u32 s4, s4, _ZN2at6native25elementwise_kernel_helperILb0EZZZNS0_12_GLOBAL__N_121bessel_y0_kernel_cudaERNS_18TensorIteratorBaseEENKUlvE_clEvENKUlvE0_clEvEUlfE_NS0_6memory8policies10vectorizedILi4ESt5arrayIPcLm2EELi4EEEEEvT0_T1_@rel32@lo+4
	s_addc_u32 s5, s5, _ZN2at6native25elementwise_kernel_helperILb0EZZZNS0_12_GLOBAL__N_121bessel_y0_kernel_cudaERNS_18TensorIteratorBaseEENKUlvE_clEvENKUlvE0_clEvEUlfE_NS0_6memory8policies10vectorizedILi4ESt5arrayIPcLm2EELi4EEEEEvT0_T1_@rel32@hi+12
	s_mov_b32 s12, s18
	v_mov_b32_e32 v0, s20
	v_mov_b32_e32 v1, s21
	;; [unrolled: 1-line block ×4, first 2 shown]
	s_swappc_b64 s[30:31], s[4:5]
	s_cbranch_execnz .LBB16_2
.LBB16_4:
	s_getpc_b64 s[4:5]
	s_add_u32 s4, s4, _ZN2at6native25elementwise_kernel_helperILb0EZZZNS0_12_GLOBAL__N_121bessel_y0_kernel_cudaERNS_18TensorIteratorBaseEENKUlvE_clEvENKUlvE0_clEvEUlfE_NS0_6memory8policies11unroll_baseILi256ESt5arrayIPcLm2EE23TrivialOffsetCalculatorILi1EjESF_NS8_15LoadWithoutCastENS8_16StoreWithoutCastELi4ELi1EEEEEvT0_T1_@rel32@lo+4
	s_addc_u32 s5, s5, _ZN2at6native25elementwise_kernel_helperILb0EZZZNS0_12_GLOBAL__N_121bessel_y0_kernel_cudaERNS_18TensorIteratorBaseEENKUlvE_clEvENKUlvE0_clEvEUlfE_NS0_6memory8policies11unroll_baseILi256ESt5arrayIPcLm2EE23TrivialOffsetCalculatorILi1EjESF_NS8_15LoadWithoutCastENS8_16StoreWithoutCastELi4ELi1EEEEEvT0_T1_@rel32@hi+12
	s_mov_b32 s12, s18
	v_mov_b32_e32 v0, s20
	v_mov_b32_e32 v1, s21
	;; [unrolled: 1-line block ×5, first 2 shown]
	s_swappc_b64 s[30:31], s[4:5]
	s_endpgm
	.section	.rodata,"a",@progbits
	.p2align	6, 0x0
	.amdhsa_kernel _ZN2at6native29vectorized_elementwise_kernelILi4EZZZNS0_12_GLOBAL__N_121bessel_y0_kernel_cudaERNS_18TensorIteratorBaseEENKUlvE_clEvENKUlvE0_clEvEUlfE_St5arrayIPcLm2EEEEviT0_T1_
		.amdhsa_group_segment_fixed_size 0
		.amdhsa_private_segment_fixed_size 0
		.amdhsa_kernarg_size 24
		.amdhsa_user_sgpr_count 6
		.amdhsa_user_sgpr_private_segment_buffer 1
		.amdhsa_user_sgpr_dispatch_ptr 0
		.amdhsa_user_sgpr_queue_ptr 0
		.amdhsa_user_sgpr_kernarg_segment_ptr 1
		.amdhsa_user_sgpr_dispatch_id 0
		.amdhsa_user_sgpr_flat_scratch_init 0
		.amdhsa_user_sgpr_private_segment_size 0
		.amdhsa_uses_dynamic_stack 0
		.amdhsa_system_sgpr_private_segment_wavefront_offset 0
		.amdhsa_system_sgpr_workgroup_id_x 1
		.amdhsa_system_sgpr_workgroup_id_y 0
		.amdhsa_system_sgpr_workgroup_id_z 0
		.amdhsa_system_sgpr_workgroup_info 0
		.amdhsa_system_vgpr_workitem_id 0
		.amdhsa_next_free_vgpr 32
		.amdhsa_next_free_sgpr 33
		.amdhsa_reserve_vcc 1
		.amdhsa_reserve_flat_scratch 0
		.amdhsa_float_round_mode_32 0
		.amdhsa_float_round_mode_16_64 0
		.amdhsa_float_denorm_mode_32 3
		.amdhsa_float_denorm_mode_16_64 3
		.amdhsa_dx10_clamp 1
		.amdhsa_ieee_mode 1
		.amdhsa_fp16_overflow 0
		.amdhsa_exception_fp_ieee_invalid_op 0
		.amdhsa_exception_fp_denorm_src 0
		.amdhsa_exception_fp_ieee_div_zero 0
		.amdhsa_exception_fp_ieee_overflow 0
		.amdhsa_exception_fp_ieee_underflow 0
		.amdhsa_exception_fp_ieee_inexact 0
		.amdhsa_exception_int_div_zero 0
	.end_amdhsa_kernel
	.section	.text._ZN2at6native29vectorized_elementwise_kernelILi4EZZZNS0_12_GLOBAL__N_121bessel_y0_kernel_cudaERNS_18TensorIteratorBaseEENKUlvE_clEvENKUlvE0_clEvEUlfE_St5arrayIPcLm2EEEEviT0_T1_,"axG",@progbits,_ZN2at6native29vectorized_elementwise_kernelILi4EZZZNS0_12_GLOBAL__N_121bessel_y0_kernel_cudaERNS_18TensorIteratorBaseEENKUlvE_clEvENKUlvE0_clEvEUlfE_St5arrayIPcLm2EEEEviT0_T1_,comdat
.Lfunc_end16:
	.size	_ZN2at6native29vectorized_elementwise_kernelILi4EZZZNS0_12_GLOBAL__N_121bessel_y0_kernel_cudaERNS_18TensorIteratorBaseEENKUlvE_clEvENKUlvE0_clEvEUlfE_St5arrayIPcLm2EEEEviT0_T1_, .Lfunc_end16-_ZN2at6native29vectorized_elementwise_kernelILi4EZZZNS0_12_GLOBAL__N_121bessel_y0_kernel_cudaERNS_18TensorIteratorBaseEENKUlvE_clEvENKUlvE0_clEvEUlfE_St5arrayIPcLm2EEEEviT0_T1_
                                        ; -- End function
	.set _ZN2at6native29vectorized_elementwise_kernelILi4EZZZNS0_12_GLOBAL__N_121bessel_y0_kernel_cudaERNS_18TensorIteratorBaseEENKUlvE_clEvENKUlvE0_clEvEUlfE_St5arrayIPcLm2EEEEviT0_T1_.num_vgpr, max(32, .L_ZN2at6native25elementwise_kernel_helperILb0EZZZNS0_12_GLOBAL__N_121bessel_y0_kernel_cudaERNS_18TensorIteratorBaseEENKUlvE_clEvENKUlvE0_clEvEUlfE_NS0_6memory8policies10vectorizedILi4ESt5arrayIPcLm2EELi4EEEEEvT0_T1_.num_vgpr, .L_ZN2at6native25elementwise_kernel_helperILb0EZZZNS0_12_GLOBAL__N_121bessel_y0_kernel_cudaERNS_18TensorIteratorBaseEENKUlvE_clEvENKUlvE0_clEvEUlfE_NS0_6memory8policies11unroll_baseILi256ESt5arrayIPcLm2EE23TrivialOffsetCalculatorILi1EjESF_NS8_15LoadWithoutCastENS8_16StoreWithoutCastELi4ELi1EEEEEvT0_T1_.num_vgpr)
	.set _ZN2at6native29vectorized_elementwise_kernelILi4EZZZNS0_12_GLOBAL__N_121bessel_y0_kernel_cudaERNS_18TensorIteratorBaseEENKUlvE_clEvENKUlvE0_clEvEUlfE_St5arrayIPcLm2EEEEviT0_T1_.num_agpr, max(0, .L_ZN2at6native25elementwise_kernel_helperILb0EZZZNS0_12_GLOBAL__N_121bessel_y0_kernel_cudaERNS_18TensorIteratorBaseEENKUlvE_clEvENKUlvE0_clEvEUlfE_NS0_6memory8policies10vectorizedILi4ESt5arrayIPcLm2EELi4EEEEEvT0_T1_.num_agpr, .L_ZN2at6native25elementwise_kernel_helperILb0EZZZNS0_12_GLOBAL__N_121bessel_y0_kernel_cudaERNS_18TensorIteratorBaseEENKUlvE_clEvENKUlvE0_clEvEUlfE_NS0_6memory8policies11unroll_baseILi256ESt5arrayIPcLm2EE23TrivialOffsetCalculatorILi1EjESF_NS8_15LoadWithoutCastENS8_16StoreWithoutCastELi4ELi1EEEEEvT0_T1_.num_agpr)
	.set _ZN2at6native29vectorized_elementwise_kernelILi4EZZZNS0_12_GLOBAL__N_121bessel_y0_kernel_cudaERNS_18TensorIteratorBaseEENKUlvE_clEvENKUlvE0_clEvEUlfE_St5arrayIPcLm2EEEEviT0_T1_.numbered_sgpr, max(33, .L_ZN2at6native25elementwise_kernel_helperILb0EZZZNS0_12_GLOBAL__N_121bessel_y0_kernel_cudaERNS_18TensorIteratorBaseEENKUlvE_clEvENKUlvE0_clEvEUlfE_NS0_6memory8policies10vectorizedILi4ESt5arrayIPcLm2EELi4EEEEEvT0_T1_.numbered_sgpr, .L_ZN2at6native25elementwise_kernel_helperILb0EZZZNS0_12_GLOBAL__N_121bessel_y0_kernel_cudaERNS_18TensorIteratorBaseEENKUlvE_clEvENKUlvE0_clEvEUlfE_NS0_6memory8policies11unroll_baseILi256ESt5arrayIPcLm2EE23TrivialOffsetCalculatorILi1EjESF_NS8_15LoadWithoutCastENS8_16StoreWithoutCastELi4ELi1EEEEEvT0_T1_.numbered_sgpr)
	.set _ZN2at6native29vectorized_elementwise_kernelILi4EZZZNS0_12_GLOBAL__N_121bessel_y0_kernel_cudaERNS_18TensorIteratorBaseEENKUlvE_clEvENKUlvE0_clEvEUlfE_St5arrayIPcLm2EEEEviT0_T1_.num_named_barrier, max(0, .L_ZN2at6native25elementwise_kernel_helperILb0EZZZNS0_12_GLOBAL__N_121bessel_y0_kernel_cudaERNS_18TensorIteratorBaseEENKUlvE_clEvENKUlvE0_clEvEUlfE_NS0_6memory8policies10vectorizedILi4ESt5arrayIPcLm2EELi4EEEEEvT0_T1_.num_named_barrier, .L_ZN2at6native25elementwise_kernel_helperILb0EZZZNS0_12_GLOBAL__N_121bessel_y0_kernel_cudaERNS_18TensorIteratorBaseEENKUlvE_clEvENKUlvE0_clEvEUlfE_NS0_6memory8policies11unroll_baseILi256ESt5arrayIPcLm2EE23TrivialOffsetCalculatorILi1EjESF_NS8_15LoadWithoutCastENS8_16StoreWithoutCastELi4ELi1EEEEEvT0_T1_.num_named_barrier)
	.set _ZN2at6native29vectorized_elementwise_kernelILi4EZZZNS0_12_GLOBAL__N_121bessel_y0_kernel_cudaERNS_18TensorIteratorBaseEENKUlvE_clEvENKUlvE0_clEvEUlfE_St5arrayIPcLm2EEEEviT0_T1_.private_seg_size, 0+max(.L_ZN2at6native25elementwise_kernel_helperILb0EZZZNS0_12_GLOBAL__N_121bessel_y0_kernel_cudaERNS_18TensorIteratorBaseEENKUlvE_clEvENKUlvE0_clEvEUlfE_NS0_6memory8policies10vectorizedILi4ESt5arrayIPcLm2EELi4EEEEEvT0_T1_.private_seg_size, .L_ZN2at6native25elementwise_kernel_helperILb0EZZZNS0_12_GLOBAL__N_121bessel_y0_kernel_cudaERNS_18TensorIteratorBaseEENKUlvE_clEvENKUlvE0_clEvEUlfE_NS0_6memory8policies11unroll_baseILi256ESt5arrayIPcLm2EE23TrivialOffsetCalculatorILi1EjESF_NS8_15LoadWithoutCastENS8_16StoreWithoutCastELi4ELi1EEEEEvT0_T1_.private_seg_size)
	.set _ZN2at6native29vectorized_elementwise_kernelILi4EZZZNS0_12_GLOBAL__N_121bessel_y0_kernel_cudaERNS_18TensorIteratorBaseEENKUlvE_clEvENKUlvE0_clEvEUlfE_St5arrayIPcLm2EEEEviT0_T1_.uses_vcc, or(1, .L_ZN2at6native25elementwise_kernel_helperILb0EZZZNS0_12_GLOBAL__N_121bessel_y0_kernel_cudaERNS_18TensorIteratorBaseEENKUlvE_clEvENKUlvE0_clEvEUlfE_NS0_6memory8policies10vectorizedILi4ESt5arrayIPcLm2EELi4EEEEEvT0_T1_.uses_vcc, .L_ZN2at6native25elementwise_kernel_helperILb0EZZZNS0_12_GLOBAL__N_121bessel_y0_kernel_cudaERNS_18TensorIteratorBaseEENKUlvE_clEvENKUlvE0_clEvEUlfE_NS0_6memory8policies11unroll_baseILi256ESt5arrayIPcLm2EE23TrivialOffsetCalculatorILi1EjESF_NS8_15LoadWithoutCastENS8_16StoreWithoutCastELi4ELi1EEEEEvT0_T1_.uses_vcc)
	.set _ZN2at6native29vectorized_elementwise_kernelILi4EZZZNS0_12_GLOBAL__N_121bessel_y0_kernel_cudaERNS_18TensorIteratorBaseEENKUlvE_clEvENKUlvE0_clEvEUlfE_St5arrayIPcLm2EEEEviT0_T1_.uses_flat_scratch, or(0, .L_ZN2at6native25elementwise_kernel_helperILb0EZZZNS0_12_GLOBAL__N_121bessel_y0_kernel_cudaERNS_18TensorIteratorBaseEENKUlvE_clEvENKUlvE0_clEvEUlfE_NS0_6memory8policies10vectorizedILi4ESt5arrayIPcLm2EELi4EEEEEvT0_T1_.uses_flat_scratch, .L_ZN2at6native25elementwise_kernel_helperILb0EZZZNS0_12_GLOBAL__N_121bessel_y0_kernel_cudaERNS_18TensorIteratorBaseEENKUlvE_clEvENKUlvE0_clEvEUlfE_NS0_6memory8policies11unroll_baseILi256ESt5arrayIPcLm2EE23TrivialOffsetCalculatorILi1EjESF_NS8_15LoadWithoutCastENS8_16StoreWithoutCastELi4ELi1EEEEEvT0_T1_.uses_flat_scratch)
	.set _ZN2at6native29vectorized_elementwise_kernelILi4EZZZNS0_12_GLOBAL__N_121bessel_y0_kernel_cudaERNS_18TensorIteratorBaseEENKUlvE_clEvENKUlvE0_clEvEUlfE_St5arrayIPcLm2EEEEviT0_T1_.has_dyn_sized_stack, or(0, .L_ZN2at6native25elementwise_kernel_helperILb0EZZZNS0_12_GLOBAL__N_121bessel_y0_kernel_cudaERNS_18TensorIteratorBaseEENKUlvE_clEvENKUlvE0_clEvEUlfE_NS0_6memory8policies10vectorizedILi4ESt5arrayIPcLm2EELi4EEEEEvT0_T1_.has_dyn_sized_stack, .L_ZN2at6native25elementwise_kernel_helperILb0EZZZNS0_12_GLOBAL__N_121bessel_y0_kernel_cudaERNS_18TensorIteratorBaseEENKUlvE_clEvENKUlvE0_clEvEUlfE_NS0_6memory8policies11unroll_baseILi256ESt5arrayIPcLm2EE23TrivialOffsetCalculatorILi1EjESF_NS8_15LoadWithoutCastENS8_16StoreWithoutCastELi4ELi1EEEEEvT0_T1_.has_dyn_sized_stack)
	.set _ZN2at6native29vectorized_elementwise_kernelILi4EZZZNS0_12_GLOBAL__N_121bessel_y0_kernel_cudaERNS_18TensorIteratorBaseEENKUlvE_clEvENKUlvE0_clEvEUlfE_St5arrayIPcLm2EEEEviT0_T1_.has_recursion, or(0, .L_ZN2at6native25elementwise_kernel_helperILb0EZZZNS0_12_GLOBAL__N_121bessel_y0_kernel_cudaERNS_18TensorIteratorBaseEENKUlvE_clEvENKUlvE0_clEvEUlfE_NS0_6memory8policies10vectorizedILi4ESt5arrayIPcLm2EELi4EEEEEvT0_T1_.has_recursion, .L_ZN2at6native25elementwise_kernel_helperILb0EZZZNS0_12_GLOBAL__N_121bessel_y0_kernel_cudaERNS_18TensorIteratorBaseEENKUlvE_clEvENKUlvE0_clEvEUlfE_NS0_6memory8policies11unroll_baseILi256ESt5arrayIPcLm2EE23TrivialOffsetCalculatorILi1EjESF_NS8_15LoadWithoutCastENS8_16StoreWithoutCastELi4ELi1EEEEEvT0_T1_.has_recursion)
	.set _ZN2at6native29vectorized_elementwise_kernelILi4EZZZNS0_12_GLOBAL__N_121bessel_y0_kernel_cudaERNS_18TensorIteratorBaseEENKUlvE_clEvENKUlvE0_clEvEUlfE_St5arrayIPcLm2EEEEviT0_T1_.has_indirect_call, or(0, .L_ZN2at6native25elementwise_kernel_helperILb0EZZZNS0_12_GLOBAL__N_121bessel_y0_kernel_cudaERNS_18TensorIteratorBaseEENKUlvE_clEvENKUlvE0_clEvEUlfE_NS0_6memory8policies10vectorizedILi4ESt5arrayIPcLm2EELi4EEEEEvT0_T1_.has_indirect_call, .L_ZN2at6native25elementwise_kernel_helperILb0EZZZNS0_12_GLOBAL__N_121bessel_y0_kernel_cudaERNS_18TensorIteratorBaseEENKUlvE_clEvENKUlvE0_clEvEUlfE_NS0_6memory8policies11unroll_baseILi256ESt5arrayIPcLm2EE23TrivialOffsetCalculatorILi1EjESF_NS8_15LoadWithoutCastENS8_16StoreWithoutCastELi4ELi1EEEEEvT0_T1_.has_indirect_call)
	.section	.AMDGPU.csdata,"",@progbits
; Kernel info:
; codeLenInByte = 172
; TotalNumSgprs: 37
; NumVgprs: 32
; ScratchSize: 0
; MemoryBound: 0
; FloatMode: 240
; IeeeMode: 1
; LDSByteSize: 0 bytes/workgroup (compile time only)
; SGPRBlocks: 4
; VGPRBlocks: 7
; NumSGPRsForWavesPerEU: 37
; NumVGPRsForWavesPerEU: 32
; Occupancy: 8
; WaveLimiterHint : 0
; COMPUTE_PGM_RSRC2:SCRATCH_EN: 0
; COMPUTE_PGM_RSRC2:USER_SGPR: 6
; COMPUTE_PGM_RSRC2:TRAP_HANDLER: 0
; COMPUTE_PGM_RSRC2:TGID_X_EN: 1
; COMPUTE_PGM_RSRC2:TGID_Y_EN: 0
; COMPUTE_PGM_RSRC2:TGID_Z_EN: 0
; COMPUTE_PGM_RSRC2:TIDIG_COMP_CNT: 0
	.section	.text._ZN2at6native29vectorized_elementwise_kernelILi2EZZZNS0_12_GLOBAL__N_121bessel_y0_kernel_cudaERNS_18TensorIteratorBaseEENKUlvE_clEvENKUlvE0_clEvEUlfE_St5arrayIPcLm2EEEEviT0_T1_,"axG",@progbits,_ZN2at6native29vectorized_elementwise_kernelILi2EZZZNS0_12_GLOBAL__N_121bessel_y0_kernel_cudaERNS_18TensorIteratorBaseEENKUlvE_clEvENKUlvE0_clEvEUlfE_St5arrayIPcLm2EEEEviT0_T1_,comdat
	.globl	_ZN2at6native29vectorized_elementwise_kernelILi2EZZZNS0_12_GLOBAL__N_121bessel_y0_kernel_cudaERNS_18TensorIteratorBaseEENKUlvE_clEvENKUlvE0_clEvEUlfE_St5arrayIPcLm2EEEEviT0_T1_ ; -- Begin function _ZN2at6native29vectorized_elementwise_kernelILi2EZZZNS0_12_GLOBAL__N_121bessel_y0_kernel_cudaERNS_18TensorIteratorBaseEENKUlvE_clEvENKUlvE0_clEvEUlfE_St5arrayIPcLm2EEEEviT0_T1_
	.p2align	8
	.type	_ZN2at6native29vectorized_elementwise_kernelILi2EZZZNS0_12_GLOBAL__N_121bessel_y0_kernel_cudaERNS_18TensorIteratorBaseEENKUlvE_clEvENKUlvE0_clEvEUlfE_St5arrayIPcLm2EEEEviT0_T1_,@function
_ZN2at6native29vectorized_elementwise_kernelILi2EZZZNS0_12_GLOBAL__N_121bessel_y0_kernel_cudaERNS_18TensorIteratorBaseEENKUlvE_clEvENKUlvE0_clEvEUlfE_St5arrayIPcLm2EEEEviT0_T1_: ; @_ZN2at6native29vectorized_elementwise_kernelILi2EZZZNS0_12_GLOBAL__N_121bessel_y0_kernel_cudaERNS_18TensorIteratorBaseEENKUlvE_clEvENKUlvE0_clEvEUlfE_St5arrayIPcLm2EEEEviT0_T1_
; %bb.0:
	s_add_u32 s0, s0, s7
	s_load_dword s7, s[4:5], 0x0
	s_load_dwordx4 s[16:19], s[4:5], 0x8
	s_addc_u32 s1, s1, 0
	s_lshl_b32 s4, s6, 10
	s_mov_b64 s[8:9], -1
	s_waitcnt lgkmcnt(0)
	s_sub_i32 s7, s7, s4
	s_cmpk_gt_i32 s7, 0x3ff
	s_mov_b32 s32, 0
	s_cbranch_scc0 .LBB17_14
; %bb.1:
	s_ashr_i32 s5, s4, 31
	s_lshl_b64 s[12:13], s[4:5], 2
	s_add_u32 s4, s18, s12
	s_addc_u32 s5, s19, s13
	v_lshlrev_b32_e32 v7, 3, v0
	global_load_dwordx2 v[5:6], v7, s[4:5]
	global_load_dwordx2 v[1:2], v7, s[4:5] offset:2048
	s_mov_b32 s4, 0x40a00000
                                        ; implicit-def: $vgpr3
	s_waitcnt vmcnt(1)
	v_cmp_ge_f32_e32 vcc, s4, v5
	s_and_saveexec_b64 s[4:5], vcc
	s_xor_b64 s[8:9], exec, s[4:5]
	s_cbranch_execz .LBB17_11
; %bb.2:
	v_cmp_neq_f32_e32 vcc, 0, v5
	v_mov_b32_e32 v3, 0xff800000
	s_and_saveexec_b64 s[10:11], vcc
	s_cbranch_execz .LBB17_10
; %bb.3:
	v_cmp_ngt_f32_e32 vcc, 0, v5
	v_mov_b32_e32 v3, 0x7fc00000
	s_and_saveexec_b64 s[14:15], vcc
	s_cbranch_execz .LBB17_9
; %bb.4:
	v_mul_f32_e32 v3, v5, v5
	s_mov_b32 s4, 0x3727c5ac
	v_mul_f32_e32 v8, 0, v3
	v_cmp_ngt_f32_e32 vcc, s4, v5
                                        ; implicit-def: $vgpr4
	s_and_saveexec_b64 s[4:5], vcc
	s_xor_b64 s[4:5], exec, s[4:5]
	s_cbranch_execz .LBB17_6
; %bb.5:
	v_add_f32_e32 v4, 0xcf8ee29d, v8
	v_mov_b32_e32 v9, 0x53e3ba8e
	v_fmac_f32_e32 v9, v3, v4
	v_mov_b32_e32 v4, 0xd762b0a7
	v_fmac_f32_e32 v4, v3, v9
	v_add_f32_e32 v9, 0x43f9c815, v8
	v_mov_b32_e32 v10, 0x4829b65a
	v_fmac_f32_e32 v10, v3, v9
	v_mov_b32_e32 v9, 0x4c38c9a1
	v_fmac_f32_e32 v9, v3, v10
	;; [unrolled: 2-line block ×8, first 2 shown]
	v_add_f32_e32 v4, 0xc0b90fdc, v3
	v_add_f32_e32 v11, 0xc1f3c525, v3
	v_mul_f32_e32 v4, v4, v11
	v_mul_f32_e32 v4, v4, v9
	v_div_scale_f32 v9, s[20:21], v10, v10, v4
	v_div_scale_f32 v11, vcc, v4, v10, v4
	v_rcp_f32_e32 v12, v9
	v_fma_f32 v13, -v9, v12, 1.0
	v_fmac_f32_e32 v12, v13, v12
	v_mul_f32_e32 v13, v11, v12
	v_fma_f32 v14, -v9, v13, v11
	v_fmac_f32_e32 v13, v14, v12
	v_fma_f32 v9, -v9, v13, v11
	v_div_fmas_f32 v9, v9, v12, v13
	v_div_fixup_f32 v4, v9, v10, v4
.LBB17_6:
	s_andn2_saveexec_b64 s[4:5], s[4:5]
; %bb.7:
	s_mov_b32 s20, 0xbe800000
	v_fma_f32 v4, v3, s20, 1.0
; %bb.8:
	s_or_b64 exec, exec, s[4:5]
	v_add_f32_e32 v9, 0x4673a1bf, v8
	v_mov_b32_e32 v10, 0xcb5fc0fa
	v_fmac_f32_e32 v10, v3, v9
	v_mov_b32_e32 v9, 0x4fa1fbc8
	v_fmac_f32_e32 v9, v3, v10
	;; [unrolled: 2-line block ×6, first 2 shown]
	v_add_f32_e32 v8, 0x44822913, v8
	v_mov_b32_e32 v10, 0x4918dbb5
	v_fmac_f32_e32 v10, v3, v8
	v_mov_b32_e32 v8, 0x4d803b1b
	v_fmac_f32_e32 v8, v3, v10
	;; [unrolled: 2-line block ×7, first 2 shown]
	v_div_scale_f32 v3, s[4:5], v8, v8, v10
	v_div_scale_f32 v9, vcc, v10, v8, v10
	s_mov_b32 s4, 0x800000
	v_rcp_f32_e32 v11, v3
	v_fma_f32 v12, -v3, v11, 1.0
	v_fmac_f32_e32 v11, v12, v11
	v_mul_f32_e32 v12, v9, v11
	v_fma_f32 v13, -v3, v12, v9
	v_fmac_f32_e32 v12, v13, v11
	v_fma_f32 v3, -v3, v12, v9
	v_div_fmas_f32 v3, v3, v11, v12
	v_cmp_gt_f32_e32 vcc, s4, v5
	v_cndmask_b32_e64 v9, 0, 32, vcc
	v_ldexp_f32 v9, v5, v9
	v_log_f32_e32 v9, v9
	s_mov_b32 s4, 0x3f317217
	v_mul_f32_e32 v11, 0x3f317217, v9
	v_fma_f32 v11, v9, s4, -v11
	v_fmac_f32_e32 v11, 0x3377d1cf, v9
	s_mov_b32 s4, 0x7f800000
	v_fmac_f32_e32 v11, 0x3f317217, v9
	v_cmp_lt_f32_e64 s[4:5], |v9|, s4
	v_div_fixup_f32 v3, v3, v8, v10
	v_cndmask_b32_e64 v8, v9, v11, s[4:5]
	v_mov_b32_e32 v9, 0x41b17218
	v_cndmask_b32_e32 v9, 0, v9, vcc
	v_sub_f32_e32 v8, v8, v9
	v_mul_f32_e32 v8, 0x3f22f983, v8
	v_fmac_f32_e32 v3, v8, v4
.LBB17_9:
	s_or_b64 exec, exec, s[14:15]
.LBB17_10:
	s_or_b64 exec, exec, s[10:11]
.LBB17_11:
	s_andn2_saveexec_b64 s[14:15], s[8:9]
	s_cbranch_execz .LBB17_23
; %bb.12:
	v_add_f32_e32 v3, 0xbf490fdb, v5
	v_and_b32_e32 v4, 0x7fffffff, v3
	s_brev_b32 s4, 18
	v_cmp_nlt_f32_e64 s[20:21], |v3|, s4
	v_lshrrev_b32_e32 v12, 23, v4
                                        ; implicit-def: $vgpr8
                                        ; implicit-def: $vgpr9
	s_and_saveexec_b64 s[4:5], s[20:21]
	s_xor_b64 s[22:23], exec, s[4:5]
	s_cbranch_execz .LBB17_16
; %bb.13:
	v_and_b32_e32 v8, 0x7fffff, v4
	v_or_b32_e32 v11, 0x800000, v8
	s_mov_b32 s4, 0xfe5163ab
	v_mad_u64_u32 v[8:9], s[4:5], v11, s4, 0
	v_mov_b32_e32 v10, 0
	s_mov_b32 s4, 0x3c439041
	v_mad_u64_u32 v[13:14], s[4:5], v11, s4, v[9:10]
	s_mov_b32 s4, 0xdb629599
	v_add_u32_e32 v18, 0xffffff88, v12
	v_mov_b32_e32 v9, v14
	v_mad_u64_u32 v[14:15], s[4:5], v11, s4, v[9:10]
	s_mov_b32 s4, 0xf534ddc0
	v_not_b32_e32 v19, 63
	v_mov_b32_e32 v9, v15
	v_mad_u64_u32 v[15:16], s[4:5], v11, s4, v[9:10]
	s_mov_b32 s4, 0xfc2757d1
	v_cmp_lt_u32_e32 vcc, 63, v18
	v_mov_b32_e32 v9, v16
	v_mad_u64_u32 v[16:17], s[4:5], v11, s4, v[9:10]
	v_cndmask_b32_e32 v9, 0, v19, vcc
	v_add_u32_e32 v19, v9, v18
	v_mov_b32_e32 v9, v17
	s_mov_b32 s4, 0x4e441529
	v_mad_u64_u32 v[17:18], s[4:5], v11, s4, v[9:10]
	v_not_b32_e32 v20, 31
	v_cmp_lt_u32_e64 s[4:5], 31, v19
	v_cndmask_b32_e64 v9, 0, v20, s[4:5]
	v_add_u32_e32 v19, v9, v19
	v_mov_b32_e32 v9, v18
	s_mov_b32 s8, 0xa2f9836e
	v_mad_u64_u32 v[9:10], s[8:9], v11, s8, v[9:10]
	v_cmp_lt_u32_e64 s[8:9], 31, v19
	v_cndmask_b32_e64 v11, 0, v20, s[8:9]
	v_cndmask_b32_e32 v18, v17, v15, vcc
	v_cndmask_b32_e32 v9, v9, v16, vcc
	;; [unrolled: 1-line block ×3, first 2 shown]
	v_add_u32_e32 v11, v11, v19
	v_cndmask_b32_e64 v19, v9, v18, s[4:5]
	v_cndmask_b32_e64 v9, v10, v9, s[4:5]
	v_cndmask_b32_e32 v10, v16, v14, vcc
	v_cndmask_b32_e64 v16, v18, v10, s[4:5]
	v_cndmask_b32_e64 v9, v9, v19, s[8:9]
	;; [unrolled: 1-line block ×3, first 2 shown]
	v_sub_u32_e32 v18, 32, v11
	v_alignbit_b32 v19, v9, v17, v18
	v_cmp_eq_u32_e64 s[10:11], 0, v11
	v_cndmask_b32_e64 v11, v19, v9, s[10:11]
	v_cndmask_b32_e32 v9, v15, v13, vcc
	v_cndmask_b32_e64 v10, v10, v9, s[4:5]
	v_cndmask_b32_e64 v13, v16, v10, s[8:9]
	v_alignbit_b32 v15, v17, v13, v18
	v_cndmask_b32_e32 v8, v14, v8, vcc
	v_cndmask_b32_e64 v15, v15, v17, s[10:11]
	v_bfe_u32 v19, v11, 29, 1
	v_cndmask_b32_e64 v8, v9, v8, s[4:5]
	v_alignbit_b32 v16, v11, v15, 30
	v_sub_u32_e32 v20, 0, v19
	v_cndmask_b32_e64 v8, v10, v8, s[8:9]
	v_xor_b32_e32 v16, v16, v20
	v_alignbit_b32 v9, v13, v8, v18
	v_cndmask_b32_e64 v9, v9, v13, s[10:11]
	v_ffbh_u32_e32 v13, v16
	v_alignbit_b32 v10, v15, v9, 30
	v_min_u32_e32 v13, 32, v13
	v_alignbit_b32 v8, v9, v8, 30
	v_xor_b32_e32 v10, v10, v20
	v_sub_u32_e32 v14, 31, v13
	v_xor_b32_e32 v8, v8, v20
	v_alignbit_b32 v15, v16, v10, v14
	v_alignbit_b32 v8, v10, v8, v14
	;; [unrolled: 1-line block ×3, first 2 shown]
	v_ffbh_u32_e32 v10, v9
	v_min_u32_e32 v10, 32, v10
	v_lshrrev_b32_e32 v17, 29, v11
	v_not_b32_e32 v14, v10
	v_alignbit_b32 v8, v9, v8, v14
	v_lshlrev_b32_e32 v9, 31, v17
	v_or_b32_e32 v14, 0x33000000, v9
	v_add_lshl_u32 v10, v10, v13, 23
	v_lshrrev_b32_e32 v8, 9, v8
	v_sub_u32_e32 v10, v14, v10
	v_or_b32_e32 v9, 0.5, v9
	v_lshlrev_b32_e32 v13, 23, v13
	v_or_b32_e32 v8, v10, v8
	v_lshrrev_b32_e32 v10, 9, v15
	v_sub_u32_e32 v9, v9, v13
	v_or_b32_e32 v9, v10, v9
	s_mov_b32 s4, 0x3fc90fda
	v_mul_f32_e32 v10, 0x3fc90fda, v9
	v_fma_f32 v13, v9, s4, -v10
	v_fmac_f32_e32 v13, 0x33a22168, v9
	v_fmac_f32_e32 v13, 0x3fc90fda, v8
	v_lshrrev_b32_e32 v8, 30, v11
	v_add_f32_e32 v9, v10, v13
	v_add_u32_e32 v8, v19, v8
	s_andn2_saveexec_b64 s[4:5], s[22:23]
	s_cbranch_execz .LBB17_18
	s_branch .LBB17_17
.LBB17_14:
	s_and_b64 vcc, exec, s[8:9]
	s_cbranch_vccz .LBB17_84
; %bb.15:
	s_getpc_b64 s[4:5]
	s_add_u32 s4, s4, _ZN2at6native25elementwise_kernel_helperILb0EZZZNS0_12_GLOBAL__N_121bessel_y0_kernel_cudaERNS_18TensorIteratorBaseEENKUlvE_clEvENKUlvE0_clEvEUlfE_NS0_6memory8policies11unroll_baseILi256ESt5arrayIPcLm2EE23TrivialOffsetCalculatorILi1EjESF_NS8_15LoadWithoutCastENS8_16StoreWithoutCastELi4ELi1EEEEEvT0_T1_@rel32@lo+4
	s_addc_u32 s5, s5, _ZN2at6native25elementwise_kernel_helperILb0EZZZNS0_12_GLOBAL__N_121bessel_y0_kernel_cudaERNS_18TensorIteratorBaseEENKUlvE_clEvENKUlvE0_clEvEUlfE_NS0_6memory8policies11unroll_baseILi256ESt5arrayIPcLm2EE23TrivialOffsetCalculatorILi1EjESF_NS8_15LoadWithoutCastENS8_16StoreWithoutCastELi4ELi1EEEEEvT0_T1_@rel32@hi+12
	s_mov_b32 s12, s6
	v_mov_b32_e32 v31, v0
	v_mov_b32_e32 v0, s16
	v_mov_b32_e32 v1, s17
	v_mov_b32_e32 v2, s18
	v_mov_b32_e32 v3, s19
	v_mov_b32_e32 v4, s7
	s_swappc_b64 s[30:31], s[4:5]
	s_endpgm
.LBB17_16:
	s_andn2_saveexec_b64 s[4:5], s[22:23]
	s_cbranch_execz .LBB17_18
.LBB17_17:
	s_mov_b32 s8, 0x3f22f983
	v_mul_f32_e64 v8, |v3|, s8
	v_rndne_f32_e32 v10, v8
	s_mov_b32 s8, 0xbfc90fda
	v_cvt_i32_f32_e32 v8, v10
	v_fma_f32 v9, v10, s8, |v3|
	v_fmac_f32_e32 v9, 0xb3a22168, v10
	v_fmac_f32_e32 v9, 0xa7c234c4, v10
.LBB17_18:
	s_or_b64 exec, exec, s[4:5]
                                        ; implicit-def: $vgpr10
                                        ; implicit-def: $vgpr11
	s_and_saveexec_b64 s[4:5], s[20:21]
	s_xor_b64 s[20:21], exec, s[4:5]
	s_cbranch_execz .LBB17_20
; %bb.19:
	v_and_b32_e32 v10, 0x7fffff, v4
	v_or_b32_e32 v19, 0x800000, v10
	s_mov_b32 s4, 0xfe5163ab
	v_mad_u64_u32 v[10:11], s[4:5], v19, s4, 0
	v_mov_b32_e32 v14, 0
	s_mov_b32 s4, 0x3c439041
	v_mov_b32_e32 v13, v11
	v_mad_u64_u32 v[15:16], s[4:5], v19, s4, v[13:14]
	s_mov_b32 s4, 0xdb629599
	v_add_u32_e32 v20, 0xffffff88, v12
	v_mov_b32_e32 v13, v16
	v_mad_u64_u32 v[16:17], s[4:5], v19, s4, v[13:14]
	s_mov_b32 s4, 0xf534ddc0
	v_not_b32_e32 v21, 63
	v_mov_b32_e32 v13, v17
	v_mad_u64_u32 v[17:18], s[4:5], v19, s4, v[13:14]
	s_mov_b32 s4, 0xfc2757d1
	v_cmp_lt_u32_e32 vcc, 63, v20
	v_mov_b32_e32 v13, v18
	v_mad_u64_u32 v[11:12], s[4:5], v19, s4, v[13:14]
	v_cndmask_b32_e32 v13, 0, v21, vcc
	v_add_u32_e32 v18, v13, v20
	v_mov_b32_e32 v13, v12
	s_mov_b32 s4, 0x4e441529
	v_mad_u64_u32 v[12:13], s[4:5], v19, s4, v[13:14]
	v_not_b32_e32 v20, 31
	v_cmp_lt_u32_e64 s[4:5], 31, v18
	s_mov_b32 s8, 0xa2f9836e
	v_cndmask_b32_e64 v21, 0, v20, s[4:5]
	v_mad_u64_u32 v[13:14], s[8:9], v19, s8, v[13:14]
	v_add_u32_e32 v18, v21, v18
	v_cmp_lt_u32_e64 s[8:9], 31, v18
	v_cndmask_b32_e64 v19, 0, v20, s[8:9]
	v_add_u32_e32 v18, v19, v18
	v_cndmask_b32_e32 v19, v12, v17, vcc
	v_cndmask_b32_e32 v13, v13, v11, vcc
	;; [unrolled: 1-line block ×4, first 2 shown]
	v_cndmask_b32_e64 v20, v13, v19, s[4:5]
	v_cndmask_b32_e64 v12, v12, v13, s[4:5]
	;; [unrolled: 1-line block ×3, first 2 shown]
	v_cndmask_b32_e32 v15, v17, v15, vcc
	v_cndmask_b32_e64 v12, v12, v20, s[8:9]
	v_cndmask_b32_e64 v14, v20, v13, s[8:9]
	v_sub_u32_e32 v19, 32, v18
	v_cndmask_b32_e64 v11, v11, v15, s[4:5]
	v_alignbit_b32 v20, v12, v14, v19
	v_cmp_eq_u32_e64 s[10:11], 0, v18
	v_cndmask_b32_e64 v13, v13, v11, s[8:9]
	v_cndmask_b32_e32 v10, v16, v10, vcc
	v_cndmask_b32_e64 v12, v20, v12, s[10:11]
	v_alignbit_b32 v17, v14, v13, v19
	v_cndmask_b32_e64 v10, v15, v10, s[4:5]
	v_cndmask_b32_e64 v14, v17, v14, s[10:11]
	v_bfe_u32 v20, v12, 29, 1
	v_cndmask_b32_e64 v10, v11, v10, s[8:9]
	v_alignbit_b32 v17, v12, v14, 30
	v_sub_u32_e32 v21, 0, v20
	v_alignbit_b32 v11, v13, v10, v19
	v_xor_b32_e32 v17, v17, v21
	v_cndmask_b32_e64 v11, v11, v13, s[10:11]
	v_alignbit_b32 v13, v14, v11, 30
	v_ffbh_u32_e32 v14, v17
	v_min_u32_e32 v14, 32, v14
	v_alignbit_b32 v10, v11, v10, 30
	v_xor_b32_e32 v13, v13, v21
	v_sub_u32_e32 v15, 31, v14
	v_xor_b32_e32 v10, v10, v21
	v_alignbit_b32 v16, v17, v13, v15
	v_alignbit_b32 v10, v13, v10, v15
	;; [unrolled: 1-line block ×3, first 2 shown]
	v_ffbh_u32_e32 v13, v11
	v_min_u32_e32 v13, 32, v13
	v_lshrrev_b32_e32 v18, 29, v12
	v_not_b32_e32 v15, v13
	v_alignbit_b32 v10, v11, v10, v15
	v_lshlrev_b32_e32 v11, 31, v18
	v_or_b32_e32 v15, 0x33000000, v11
	v_add_lshl_u32 v13, v13, v14, 23
	v_lshrrev_b32_e32 v10, 9, v10
	v_sub_u32_e32 v13, v15, v13
	v_or_b32_e32 v11, 0.5, v11
	v_lshlrev_b32_e32 v14, 23, v14
	v_or_b32_e32 v10, v13, v10
	v_lshrrev_b32_e32 v13, 9, v16
	v_sub_u32_e32 v11, v11, v14
	v_or_b32_e32 v11, v13, v11
	s_mov_b32 s4, 0x3fc90fda
	v_mul_f32_e32 v13, 0x3fc90fda, v11
	v_fma_f32 v14, v11, s4, -v13
	v_fmac_f32_e32 v14, 0x33a22168, v11
	v_fmac_f32_e32 v14, 0x3fc90fda, v10
	v_lshrrev_b32_e32 v10, 30, v12
	v_add_f32_e32 v11, v13, v14
	v_add_u32_e32 v10, v20, v10
	s_andn2_saveexec_b64 s[4:5], s[20:21]
	s_cbranch_execnz .LBB17_21
	s_branch .LBB17_22
.LBB17_20:
	s_andn2_saveexec_b64 s[4:5], s[20:21]
	s_cbranch_execz .LBB17_22
.LBB17_21:
	s_mov_b32 s8, 0x3f22f983
	v_mul_f32_e64 v10, |v3|, s8
	v_rndne_f32_e32 v12, v10
	s_mov_b32 s8, 0xbfc90fda
	v_cvt_i32_f32_e32 v10, v12
	v_fma_f32 v11, v12, s8, |v3|
	v_fmac_f32_e32 v11, 0xb3a22168, v12
	v_fmac_f32_e32 v11, 0xa7c234c4, v12
.LBB17_22:
	s_or_b64 exec, exec, s[4:5]
	v_mul_f32_e32 v12, v5, v5
	s_mov_b32 s8, 0x41c80000
	v_div_scale_f32 v13, s[4:5], v12, v12, s8
	v_div_scale_f32 v14, vcc, s8, v12, s8
	v_mov_b32_e32 v20, 0x3a725406
	v_mov_b32_e32 v21, 0x3daf5e2d
	;; [unrolled: 1-line block ×9, first 2 shown]
	s_mov_b32 s10, 0x40a00000
	v_mov_b32_e32 v27, 0x4572a66e
	v_mov_b32_e32 v28, 0x45e243be
	v_rcp_f32_e32 v15, v13
	v_mov_b32_e32 v29, 0x45b955d1
	v_mov_b32_e32 v30, 0x4500e17e
	;; [unrolled: 1-line block ×3, first 2 shown]
	v_fma_f32 v16, -v13, v15, 1.0
	v_fmac_f32_e32 v15, v16, v15
	v_mul_f32_e32 v16, v14, v15
	v_fma_f32 v17, -v13, v16, v14
	v_fmac_f32_e32 v16, v17, v15
	v_fma_f32 v13, -v13, v16, v14
	v_div_fmas_f32 v13, v13, v15, v16
	v_mov_b32_e32 v14, 0x3a50e985
	v_mov_b32_e32 v15, 0x3da9a586
	;; [unrolled: 1-line block ×4, first 2 shown]
	v_mul_f32_e32 v33, v9, v9
	v_xor_b32_e32 v4, v4, v3
	v_div_fixup_f32 v12, v13, v12, s8
	v_fmac_f32_e32 v14, 0, v12
	v_fmac_f32_e32 v20, 0, v12
	;; [unrolled: 1-line block ×12, first 2 shown]
	v_fma_f32 v13, v12, v25, 1.0
	v_fma_f32 v14, v12, v19, 1.0
	v_div_scale_f32 v15, s[4:5], v13, v13, v14
	v_div_scale_f32 v20, vcc, v14, v13, v14
	v_mov_b32_e32 v16, 0xbfa429da
	v_mov_b32_e32 v23, 0x4280a2ba
	v_fmac_f32_e32 v26, 0, v12
	v_mov_b32_e32 v17, 0xc19c6e80
	v_mov_b32_e32 v24, 0x44561b86
	v_fmac_f32_e32 v23, 0, v12
	v_fmac_f32_e32 v16, v12, v26
	v_mov_b32_e32 v18, 0xc2ba697b
	v_fmac_f32_e32 v24, v12, v23
	v_fmac_f32_e32 v17, v12, v16
	v_mov_b32_e32 v19, 0xc331ae61
	v_fmac_f32_e32 v27, v12, v24
	v_rcp_f32_e32 v31, v15
	v_fmac_f32_e32 v18, v12, v17
	v_mov_b32_e32 v21, 0xc31313d7
	v_fmac_f32_e32 v28, v12, v27
	v_fma_f32 v34, -v15, v31, 1.0
	v_fmac_f32_e32 v31, v34, v31
	v_mul_f32_e32 v34, v20, v31
	v_fma_f32 v35, -v15, v34, v20
	v_fmac_f32_e32 v34, v35, v31
	v_fma_f32 v15, -v15, v34, v20
	v_div_scale_f32 v35, s[4:5], v5, v5, s10
	v_div_fmas_f32 v15, v15, v31, v34
	v_fmac_f32_e32 v19, v12, v18
	v_mov_b32_e32 v22, 0xc24da463
	v_fmac_f32_e32 v29, v12, v28
	v_fmac_f32_e32 v21, v12, v19
	v_mov_b32_e32 v25, 0xc0c19ac7
	v_fmac_f32_e32 v30, v12, v29
	v_fmac_f32_e32 v22, v12, v21
	;; [unrolled: 1-line block ×4, first 2 shown]
	v_div_scale_f32 v20, s[4:5], s10, v5, s10
	v_div_scale_f32 v12, s[8:9], v32, v32, v25
	;; [unrolled: 1-line block ×3, first 2 shown]
	v_div_fixup_f32 v13, v15, v13, v14
	v_mov_b32_e32 v14, 0x3c0881c4
	v_rcp_f32_e32 v16, v35
	v_fmac_f32_e32 v14, 0xb94c1982, v33
	v_mov_b32_e32 v15, 0xbe2aaa9d
	v_fma_f32 v14, v33, v14, v15
	v_mul_f32_e32 v14, v33, v14
	v_fmac_f32_e32 v9, v9, v14
	v_fma_f32 v14, -v35, v16, 1.0
	v_fmac_f32_e32 v16, v14, v16
	v_mul_f32_e32 v14, v20, v16
	v_fma_f32 v18, -v35, v14, v20
	v_rcp_f32_e32 v19, v12
	v_fmac_f32_e32 v14, v18, v16
	v_fma_f32 v18, -v35, v14, v20
	s_mov_b64 vcc, s[4:5]
	v_div_fmas_f32 v14, v18, v16, v14
	v_fma_f32 v16, -v12, v19, 1.0
	v_fmac_f32_e32 v19, v16, v19
	v_mul_f32_e32 v16, v17, v19
	v_fma_f32 v18, -v12, v16, v17
	v_fmac_f32_e32 v16, v18, v19
	v_fma_f32 v12, -v12, v16, v17
	s_mov_b64 vcc, s[8:9]
	v_div_fmas_f32 v12, v12, v19, v16
	v_mov_b32_e32 v17, 0xbab64f3b
	v_fmac_f32_e32 v17, 0x37d75334, v33
	v_mov_b32_e32 v16, 0x3d2aabf7
	v_fma_f32 v17, v33, v17, v16
	v_mov_b32_e32 v19, 0xbf000004
	v_fma_f32 v17, v33, v17, v19
	v_and_b32_e32 v21, 1, v8
	v_lshlrev_b32_e32 v8, 30, v8
	v_fma_f32 v17, v33, v17, 1.0
	v_cmp_eq_u32_e32 vcc, 0, v21
	v_and_b32_e32 v8, 0x80000000, v8
	v_cndmask_b32_e32 v9, v17, v9, vcc
	v_xor_b32_e32 v4, v4, v8
	s_movk_i32 s4, 0x1f8
	v_xor_b32_e32 v4, v4, v9
	v_mov_b32_e32 v8, 0x7fc00000
	v_cmp_class_f32_e64 vcc, v3, s4
	v_cndmask_b32_e32 v3, v8, v4, vcc
	v_div_fixup_f32 v4, v14, v5, s10
	v_div_fixup_f32 v9, v12, v32, v25
	v_mov_b32_e32 v20, 0x3c0881c4
	v_mul_f32_e32 v4, v4, v9
	v_mul_f32_e32 v9, v11, v11
	v_mov_b32_e32 v18, 0xbab64f3b
	v_fmac_f32_e32 v20, 0xb94c1982, v9
	v_fmac_f32_e32 v15, v9, v20
	;; [unrolled: 1-line block ×3, first 2 shown]
	v_mul_f32_e32 v12, v9, v15
	v_fmac_f32_e32 v16, v9, v18
	v_fmac_f32_e32 v11, v11, v12
	;; [unrolled: 1-line block ×3, first 2 shown]
	v_and_b32_e32 v12, 1, v10
	v_fma_f32 v9, v9, v19, 1.0
	v_cmp_eq_u32_e64 s[4:5], 0, v12
	v_lshlrev_b32_e32 v10, 30, v10
	v_cndmask_b32_e64 v9, -v11, v9, s[4:5]
	v_and_b32_e32 v10, 0x80000000, v10
	v_xor_b32_e32 v9, v10, v9
	s_mov_b32 s4, 0xf800000
	v_cndmask_b32_e32 v8, v8, v9, vcc
	v_mul_f32_e32 v9, 0x4f800000, v5
	v_cmp_gt_f32_e32 vcc, s4, v5
	v_cndmask_b32_e32 v5, v5, v9, vcc
	v_sqrt_f32_e32 v9, v5
	v_mul_f32_e32 v4, v4, v8
	v_fmac_f32_e32 v4, v13, v3
	v_mul_f32_e32 v3, 0x3f4c422a, v4
	v_add_u32_e32 v4, -1, v9
	v_fma_f32 v8, -v4, v9, v5
	v_cmp_ge_f32_e64 s[4:5], 0, v8
	v_add_u32_e32 v8, 1, v9
	v_cndmask_b32_e64 v4, v9, v4, s[4:5]
	v_fma_f32 v9, -v8, v9, v5
	v_cmp_lt_f32_e64 s[4:5], 0, v9
	v_cndmask_b32_e64 v4, v4, v8, s[4:5]
	v_mul_f32_e32 v8, 0x37800000, v4
	v_cndmask_b32_e32 v4, v4, v8, vcc
	v_mov_b32_e32 v8, 0x260
	v_cmp_class_f32_e32 vcc, v5, v8
	v_cndmask_b32_e32 v4, v4, v5, vcc
	v_div_scale_f32 v5, s[4:5], v4, v4, v3
	v_div_scale_f32 v8, vcc, v3, v4, v3
	v_rcp_f32_e32 v9, v5
	v_fma_f32 v10, -v5, v9, 1.0
	v_fmac_f32_e32 v9, v10, v9
	v_mul_f32_e32 v10, v8, v9
	v_fma_f32 v11, -v5, v10, v8
	v_fmac_f32_e32 v10, v11, v9
	v_fma_f32 v5, -v5, v10, v8
	v_div_fmas_f32 v5, v5, v9, v10
	v_div_fixup_f32 v3, v5, v4, v3
.LBB17_23:
	s_or_b64 exec, exec, s[14:15]
	s_mov_b32 s4, 0x40a00000
	v_cmp_ge_f32_e32 vcc, s4, v6
	s_and_saveexec_b64 s[4:5], vcc
	s_xor_b64 s[8:9], exec, s[4:5]
	s_cbranch_execz .LBB17_33
; %bb.24:
	v_cmp_neq_f32_e32 vcc, 0, v6
	v_mov_b32_e32 v4, 0xff800000
	s_and_saveexec_b64 s[10:11], vcc
	s_cbranch_execz .LBB17_32
; %bb.25:
	v_cmp_ngt_f32_e32 vcc, 0, v6
	v_mov_b32_e32 v4, 0x7fc00000
	s_and_saveexec_b64 s[14:15], vcc
	s_cbranch_execz .LBB17_31
; %bb.26:
	v_mul_f32_e32 v4, v6, v6
	s_mov_b32 s4, 0x3727c5ac
	v_mul_f32_e32 v8, 0, v4
	v_cmp_ngt_f32_e32 vcc, s4, v6
                                        ; implicit-def: $vgpr5
	s_and_saveexec_b64 s[4:5], vcc
	s_xor_b64 s[4:5], exec, s[4:5]
	s_cbranch_execz .LBB17_28
; %bb.27:
	v_add_f32_e32 v5, 0xcf8ee29d, v8
	v_mov_b32_e32 v9, 0x53e3ba8e
	v_fmac_f32_e32 v9, v4, v5
	v_mov_b32_e32 v5, 0xd762b0a7
	v_fmac_f32_e32 v5, v4, v9
	v_add_f32_e32 v9, 0x43f9c815, v8
	v_mov_b32_e32 v10, 0x4829b65a
	v_fmac_f32_e32 v10, v4, v9
	v_mov_b32_e32 v9, 0x4c38c9a1
	v_fmac_f32_e32 v9, v4, v10
	;; [unrolled: 2-line block ×8, first 2 shown]
	v_add_f32_e32 v5, 0xc0b90fdc, v4
	v_add_f32_e32 v11, 0xc1f3c525, v4
	v_mul_f32_e32 v5, v5, v11
	v_mul_f32_e32 v5, v5, v9
	v_div_scale_f32 v9, s[20:21], v10, v10, v5
	v_div_scale_f32 v11, vcc, v5, v10, v5
	v_rcp_f32_e32 v12, v9
	v_fma_f32 v13, -v9, v12, 1.0
	v_fmac_f32_e32 v12, v13, v12
	v_mul_f32_e32 v13, v11, v12
	v_fma_f32 v14, -v9, v13, v11
	v_fmac_f32_e32 v13, v14, v12
	v_fma_f32 v9, -v9, v13, v11
	v_div_fmas_f32 v9, v9, v12, v13
	v_div_fixup_f32 v5, v9, v10, v5
.LBB17_28:
	s_andn2_saveexec_b64 s[4:5], s[4:5]
; %bb.29:
	s_mov_b32 s20, 0xbe800000
	v_fma_f32 v5, v4, s20, 1.0
; %bb.30:
	s_or_b64 exec, exec, s[4:5]
	v_add_f32_e32 v9, 0x4673a1bf, v8
	v_mov_b32_e32 v10, 0xcb5fc0fa
	v_fmac_f32_e32 v10, v4, v9
	v_mov_b32_e32 v9, 0x4fa1fbc8
	v_fmac_f32_e32 v9, v4, v10
	;; [unrolled: 2-line block ×6, first 2 shown]
	v_add_f32_e32 v8, 0x44822913, v8
	v_mov_b32_e32 v10, 0x4918dbb5
	v_fmac_f32_e32 v10, v4, v8
	v_mov_b32_e32 v8, 0x4d803b1b
	v_fmac_f32_e32 v8, v4, v10
	;; [unrolled: 2-line block ×7, first 2 shown]
	v_div_scale_f32 v4, s[4:5], v8, v8, v10
	v_div_scale_f32 v9, vcc, v10, v8, v10
	s_mov_b32 s4, 0x800000
	v_rcp_f32_e32 v11, v4
	v_fma_f32 v12, -v4, v11, 1.0
	v_fmac_f32_e32 v11, v12, v11
	v_mul_f32_e32 v12, v9, v11
	v_fma_f32 v13, -v4, v12, v9
	v_fmac_f32_e32 v12, v13, v11
	v_fma_f32 v4, -v4, v12, v9
	v_div_fmas_f32 v4, v4, v11, v12
	v_cmp_gt_f32_e32 vcc, s4, v6
	v_cndmask_b32_e64 v9, 0, 32, vcc
	v_ldexp_f32 v6, v6, v9
	v_log_f32_e32 v6, v6
	s_mov_b32 s4, 0x3f317217
	v_mul_f32_e32 v9, 0x3f317217, v6
	v_fma_f32 v9, v6, s4, -v9
	v_fmac_f32_e32 v9, 0x3377d1cf, v6
	s_mov_b32 s4, 0x7f800000
	v_fmac_f32_e32 v9, 0x3f317217, v6
	v_cmp_lt_f32_e64 s[4:5], |v6|, s4
	v_cndmask_b32_e64 v6, v6, v9, s[4:5]
	v_div_fixup_f32 v4, v4, v8, v10
	v_mov_b32_e32 v8, 0x41b17218
	v_cndmask_b32_e32 v8, 0, v8, vcc
	v_sub_f32_e32 v6, v6, v8
	v_mul_f32_e32 v6, 0x3f22f983, v6
	v_fmac_f32_e32 v4, v6, v5
.LBB17_31:
	s_or_b64 exec, exec, s[14:15]
.LBB17_32:
	s_or_b64 exec, exec, s[10:11]
                                        ; implicit-def: $vgpr5_vgpr6
.LBB17_33:
	s_andn2_saveexec_b64 s[14:15], s[8:9]
	s_cbranch_execz .LBB17_43
; %bb.34:
	v_add_f32_e32 v4, 0xbf490fdb, v6
	v_and_b32_e32 v5, 0x7fffffff, v4
	s_brev_b32 s4, 18
	v_cmp_nlt_f32_e64 s[20:21], |v4|, s4
	v_lshrrev_b32_e32 v12, 23, v5
                                        ; implicit-def: $vgpr8
                                        ; implicit-def: $vgpr9
	s_and_saveexec_b64 s[4:5], s[20:21]
	s_xor_b64 s[22:23], exec, s[4:5]
	s_cbranch_execz .LBB17_36
; %bb.35:
	v_and_b32_e32 v8, 0x7fffff, v5
	v_or_b32_e32 v11, 0x800000, v8
	s_mov_b32 s4, 0xfe5163ab
	v_mad_u64_u32 v[8:9], s[4:5], v11, s4, 0
	v_mov_b32_e32 v10, 0
	s_mov_b32 s4, 0x3c439041
	v_mad_u64_u32 v[13:14], s[4:5], v11, s4, v[9:10]
	s_mov_b32 s4, 0xdb629599
	v_add_u32_e32 v18, 0xffffff88, v12
	v_mov_b32_e32 v9, v14
	v_mad_u64_u32 v[14:15], s[4:5], v11, s4, v[9:10]
	s_mov_b32 s4, 0xf534ddc0
	v_not_b32_e32 v19, 63
	v_mov_b32_e32 v9, v15
	v_mad_u64_u32 v[15:16], s[4:5], v11, s4, v[9:10]
	s_mov_b32 s4, 0xfc2757d1
	v_cmp_lt_u32_e32 vcc, 63, v18
	v_mov_b32_e32 v9, v16
	v_mad_u64_u32 v[16:17], s[4:5], v11, s4, v[9:10]
	v_cndmask_b32_e32 v9, 0, v19, vcc
	v_add_u32_e32 v19, v9, v18
	v_mov_b32_e32 v9, v17
	s_mov_b32 s4, 0x4e441529
	v_mad_u64_u32 v[17:18], s[4:5], v11, s4, v[9:10]
	v_not_b32_e32 v20, 31
	v_cmp_lt_u32_e64 s[4:5], 31, v19
	v_cndmask_b32_e64 v9, 0, v20, s[4:5]
	v_add_u32_e32 v19, v9, v19
	v_mov_b32_e32 v9, v18
	s_mov_b32 s8, 0xa2f9836e
	v_mad_u64_u32 v[9:10], s[8:9], v11, s8, v[9:10]
	v_cmp_lt_u32_e64 s[8:9], 31, v19
	v_cndmask_b32_e64 v11, 0, v20, s[8:9]
	v_cndmask_b32_e32 v18, v17, v15, vcc
	v_cndmask_b32_e32 v9, v9, v16, vcc
	;; [unrolled: 1-line block ×3, first 2 shown]
	v_add_u32_e32 v11, v11, v19
	v_cndmask_b32_e64 v19, v9, v18, s[4:5]
	v_cndmask_b32_e64 v9, v10, v9, s[4:5]
	v_cndmask_b32_e32 v10, v16, v14, vcc
	v_cndmask_b32_e64 v16, v18, v10, s[4:5]
	v_cndmask_b32_e64 v9, v9, v19, s[8:9]
	;; [unrolled: 1-line block ×3, first 2 shown]
	v_sub_u32_e32 v18, 32, v11
	v_alignbit_b32 v19, v9, v17, v18
	v_cmp_eq_u32_e64 s[10:11], 0, v11
	v_cndmask_b32_e64 v11, v19, v9, s[10:11]
	v_cndmask_b32_e32 v9, v15, v13, vcc
	v_cndmask_b32_e64 v10, v10, v9, s[4:5]
	v_cndmask_b32_e64 v13, v16, v10, s[8:9]
	v_alignbit_b32 v15, v17, v13, v18
	v_cndmask_b32_e32 v8, v14, v8, vcc
	v_cndmask_b32_e64 v15, v15, v17, s[10:11]
	v_bfe_u32 v19, v11, 29, 1
	v_cndmask_b32_e64 v8, v9, v8, s[4:5]
	v_alignbit_b32 v16, v11, v15, 30
	v_sub_u32_e32 v20, 0, v19
	v_cndmask_b32_e64 v8, v10, v8, s[8:9]
	v_xor_b32_e32 v16, v16, v20
	v_alignbit_b32 v9, v13, v8, v18
	v_cndmask_b32_e64 v9, v9, v13, s[10:11]
	v_ffbh_u32_e32 v13, v16
	v_alignbit_b32 v10, v15, v9, 30
	v_min_u32_e32 v13, 32, v13
	v_alignbit_b32 v8, v9, v8, 30
	v_xor_b32_e32 v10, v10, v20
	v_sub_u32_e32 v14, 31, v13
	v_xor_b32_e32 v8, v8, v20
	v_alignbit_b32 v15, v16, v10, v14
	v_alignbit_b32 v8, v10, v8, v14
	;; [unrolled: 1-line block ×3, first 2 shown]
	v_ffbh_u32_e32 v10, v9
	v_min_u32_e32 v10, 32, v10
	v_lshrrev_b32_e32 v17, 29, v11
	v_not_b32_e32 v14, v10
	v_alignbit_b32 v8, v9, v8, v14
	v_lshlrev_b32_e32 v9, 31, v17
	v_or_b32_e32 v14, 0x33000000, v9
	v_add_lshl_u32 v10, v10, v13, 23
	v_lshrrev_b32_e32 v8, 9, v8
	v_sub_u32_e32 v10, v14, v10
	v_or_b32_e32 v9, 0.5, v9
	v_lshlrev_b32_e32 v13, 23, v13
	v_or_b32_e32 v8, v10, v8
	v_lshrrev_b32_e32 v10, 9, v15
	v_sub_u32_e32 v9, v9, v13
	v_or_b32_e32 v9, v10, v9
	s_mov_b32 s4, 0x3fc90fda
	v_mul_f32_e32 v10, 0x3fc90fda, v9
	v_fma_f32 v13, v9, s4, -v10
	v_fmac_f32_e32 v13, 0x33a22168, v9
	v_fmac_f32_e32 v13, 0x3fc90fda, v8
	v_lshrrev_b32_e32 v8, 30, v11
	v_add_f32_e32 v9, v10, v13
	v_add_u32_e32 v8, v19, v8
	s_andn2_saveexec_b64 s[4:5], s[22:23]
	s_cbranch_execz .LBB17_38
	s_branch .LBB17_37
.LBB17_36:
	s_andn2_saveexec_b64 s[4:5], s[22:23]
	s_cbranch_execz .LBB17_38
.LBB17_37:
	s_mov_b32 s8, 0x3f22f983
	v_mul_f32_e64 v8, |v4|, s8
	v_rndne_f32_e32 v10, v8
	s_mov_b32 s8, 0xbfc90fda
	v_cvt_i32_f32_e32 v8, v10
	v_fma_f32 v9, v10, s8, |v4|
	v_fmac_f32_e32 v9, 0xb3a22168, v10
	v_fmac_f32_e32 v9, 0xa7c234c4, v10
.LBB17_38:
	s_or_b64 exec, exec, s[4:5]
                                        ; implicit-def: $vgpr10
                                        ; implicit-def: $vgpr11
	s_and_saveexec_b64 s[4:5], s[20:21]
	s_xor_b64 s[20:21], exec, s[4:5]
	s_cbranch_execz .LBB17_40
; %bb.39:
	v_and_b32_e32 v10, 0x7fffff, v5
	v_or_b32_e32 v19, 0x800000, v10
	s_mov_b32 s4, 0xfe5163ab
	v_mad_u64_u32 v[10:11], s[4:5], v19, s4, 0
	v_mov_b32_e32 v14, 0
	s_mov_b32 s4, 0x3c439041
	v_mov_b32_e32 v13, v11
	v_mad_u64_u32 v[15:16], s[4:5], v19, s4, v[13:14]
	s_mov_b32 s4, 0xdb629599
	v_add_u32_e32 v20, 0xffffff88, v12
	v_mov_b32_e32 v13, v16
	v_mad_u64_u32 v[16:17], s[4:5], v19, s4, v[13:14]
	s_mov_b32 s4, 0xf534ddc0
	v_not_b32_e32 v21, 63
	v_mov_b32_e32 v13, v17
	v_mad_u64_u32 v[17:18], s[4:5], v19, s4, v[13:14]
	s_mov_b32 s4, 0xfc2757d1
	v_cmp_lt_u32_e32 vcc, 63, v20
	v_mov_b32_e32 v13, v18
	v_mad_u64_u32 v[11:12], s[4:5], v19, s4, v[13:14]
	v_cndmask_b32_e32 v13, 0, v21, vcc
	v_add_u32_e32 v18, v13, v20
	v_mov_b32_e32 v13, v12
	s_mov_b32 s4, 0x4e441529
	v_mad_u64_u32 v[12:13], s[4:5], v19, s4, v[13:14]
	v_not_b32_e32 v20, 31
	v_cmp_lt_u32_e64 s[4:5], 31, v18
	s_mov_b32 s8, 0xa2f9836e
	v_cndmask_b32_e64 v21, 0, v20, s[4:5]
	v_mad_u64_u32 v[13:14], s[8:9], v19, s8, v[13:14]
	v_add_u32_e32 v18, v21, v18
	v_cmp_lt_u32_e64 s[8:9], 31, v18
	v_cndmask_b32_e64 v19, 0, v20, s[8:9]
	v_add_u32_e32 v18, v19, v18
	v_cndmask_b32_e32 v19, v12, v17, vcc
	v_cndmask_b32_e32 v13, v13, v11, vcc
	;; [unrolled: 1-line block ×4, first 2 shown]
	v_cndmask_b32_e64 v20, v13, v19, s[4:5]
	v_cndmask_b32_e64 v12, v12, v13, s[4:5]
	;; [unrolled: 1-line block ×3, first 2 shown]
	v_cndmask_b32_e32 v15, v17, v15, vcc
	v_cndmask_b32_e64 v12, v12, v20, s[8:9]
	v_cndmask_b32_e64 v14, v20, v13, s[8:9]
	v_sub_u32_e32 v19, 32, v18
	v_cndmask_b32_e64 v11, v11, v15, s[4:5]
	v_alignbit_b32 v20, v12, v14, v19
	v_cmp_eq_u32_e64 s[10:11], 0, v18
	v_cndmask_b32_e64 v13, v13, v11, s[8:9]
	v_cndmask_b32_e32 v10, v16, v10, vcc
	v_cndmask_b32_e64 v12, v20, v12, s[10:11]
	v_alignbit_b32 v17, v14, v13, v19
	v_cndmask_b32_e64 v10, v15, v10, s[4:5]
	v_cndmask_b32_e64 v14, v17, v14, s[10:11]
	v_bfe_u32 v20, v12, 29, 1
	v_cndmask_b32_e64 v10, v11, v10, s[8:9]
	v_alignbit_b32 v17, v12, v14, 30
	v_sub_u32_e32 v21, 0, v20
	v_alignbit_b32 v11, v13, v10, v19
	v_xor_b32_e32 v17, v17, v21
	v_cndmask_b32_e64 v11, v11, v13, s[10:11]
	v_alignbit_b32 v13, v14, v11, 30
	v_ffbh_u32_e32 v14, v17
	v_min_u32_e32 v14, 32, v14
	v_alignbit_b32 v10, v11, v10, 30
	v_xor_b32_e32 v13, v13, v21
	v_sub_u32_e32 v15, 31, v14
	v_xor_b32_e32 v10, v10, v21
	v_alignbit_b32 v16, v17, v13, v15
	v_alignbit_b32 v10, v13, v10, v15
	;; [unrolled: 1-line block ×3, first 2 shown]
	v_ffbh_u32_e32 v13, v11
	v_min_u32_e32 v13, 32, v13
	v_lshrrev_b32_e32 v18, 29, v12
	v_not_b32_e32 v15, v13
	v_alignbit_b32 v10, v11, v10, v15
	v_lshlrev_b32_e32 v11, 31, v18
	v_or_b32_e32 v15, 0x33000000, v11
	v_add_lshl_u32 v13, v13, v14, 23
	v_lshrrev_b32_e32 v10, 9, v10
	v_sub_u32_e32 v13, v15, v13
	v_or_b32_e32 v11, 0.5, v11
	v_lshlrev_b32_e32 v14, 23, v14
	v_or_b32_e32 v10, v13, v10
	v_lshrrev_b32_e32 v13, 9, v16
	v_sub_u32_e32 v11, v11, v14
	v_or_b32_e32 v11, v13, v11
	s_mov_b32 s4, 0x3fc90fda
	v_mul_f32_e32 v13, 0x3fc90fda, v11
	v_fma_f32 v14, v11, s4, -v13
	v_fmac_f32_e32 v14, 0x33a22168, v11
	v_fmac_f32_e32 v14, 0x3fc90fda, v10
	v_lshrrev_b32_e32 v10, 30, v12
	v_add_f32_e32 v11, v13, v14
	v_add_u32_e32 v10, v20, v10
	s_andn2_saveexec_b64 s[4:5], s[20:21]
	s_cbranch_execnz .LBB17_41
	s_branch .LBB17_42
.LBB17_40:
	s_andn2_saveexec_b64 s[4:5], s[20:21]
	s_cbranch_execz .LBB17_42
.LBB17_41:
	s_mov_b32 s8, 0x3f22f983
	v_mul_f32_e64 v10, |v4|, s8
	v_rndne_f32_e32 v12, v10
	s_mov_b32 s8, 0xbfc90fda
	v_cvt_i32_f32_e32 v10, v12
	v_fma_f32 v11, v12, s8, |v4|
	v_fmac_f32_e32 v11, 0xb3a22168, v12
	v_fmac_f32_e32 v11, 0xa7c234c4, v12
.LBB17_42:
	s_or_b64 exec, exec, s[4:5]
	v_mul_f32_e32 v12, v6, v6
	s_mov_b32 s8, 0x41c80000
	v_div_scale_f32 v13, s[4:5], v12, v12, s8
	v_div_scale_f32 v14, vcc, s8, v12, s8
	v_mov_b32_e32 v15, 0x3a50e985
	v_mov_b32_e32 v17, 0x3da9a586
	;; [unrolled: 1-line block ×12, first 2 shown]
	v_rcp_f32_e32 v16, v13
	v_mov_b32_e32 v30, 0xc331ae61
	v_mov_b32_e32 v31, 0xc31313d7
	;; [unrolled: 1-line block ×3, first 2 shown]
	v_fma_f32 v20, -v13, v16, 1.0
	v_fmac_f32_e32 v16, v20, v16
	v_mul_f32_e32 v20, v14, v16
	v_fma_f32 v21, -v13, v20, v14
	v_fmac_f32_e32 v20, v21, v16
	v_fma_f32 v13, -v13, v20, v14
	v_div_fmas_f32 v13, v13, v16, v20
	v_mov_b32_e32 v20, 0x3a725406
	v_mov_b32_e32 v21, 0x3daf5e2d
	;; [unrolled: 1-line block ×6, first 2 shown]
	v_xor_b32_e32 v5, v5, v4
	v_mov_b32_e32 v33, 0x3c0881c4
	v_div_fixup_f32 v12, v13, v12, s8
	v_fmac_f32_e32 v15, 0, v12
	v_fmac_f32_e32 v20, 0, v12
	;; [unrolled: 1-line block ×12, first 2 shown]
	v_fma_f32 v13, v12, v25, 1.0
	v_fma_f32 v14, v12, v16, 1.0
	v_div_scale_f32 v15, s[4:5], v13, v13, v14
	v_div_scale_f32 v20, vcc, v14, v13, v14
	v_mov_b32_e32 v17, 0x4280a2ba
	s_mov_b32 s8, 0x40a00000
	v_fmac_f32_e32 v26, 0, v12
	v_mov_b32_e32 v18, 0x44561b86
	v_div_scale_f32 v37, s[4:5], v6, v6, s8
	v_fmac_f32_e32 v17, 0, v12
	v_fmac_f32_e32 v27, v12, v26
	v_mov_b32_e32 v19, 0x4572a66e
	v_fmac_f32_e32 v18, v12, v17
	v_fmac_f32_e32 v28, v12, v27
	v_mov_b32_e32 v21, 0x45e243be
	v_rcp_f32_e32 v36, v15
	v_fmac_f32_e32 v19, v12, v18
	v_fmac_f32_e32 v29, v12, v28
	v_mov_b32_e32 v22, 0x45b955d1
	v_fma_f32 v38, -v15, v36, 1.0
	v_fmac_f32_e32 v36, v38, v36
	v_mul_f32_e32 v38, v20, v36
	v_fma_f32 v39, -v15, v38, v20
	v_fmac_f32_e32 v38, v39, v36
	v_fma_f32 v15, -v15, v38, v20
	v_div_fmas_f32 v15, v15, v36, v38
	v_fmac_f32_e32 v21, v12, v19
	v_fmac_f32_e32 v30, v12, v29
	v_mov_b32_e32 v23, 0x4500e17e
	v_fmac_f32_e32 v22, v12, v21
	v_fmac_f32_e32 v31, v12, v30
	v_mov_b32_e32 v16, 0xc0c19ac7
	v_mov_b32_e32 v24, 0x43720178
	v_fmac_f32_e32 v23, v12, v22
	v_fmac_f32_e32 v32, v12, v31
	;; [unrolled: 1-line block ×4, first 2 shown]
	v_rcp_f32_e32 v18, v37
	v_mul_f32_e32 v25, v9, v9
	v_mov_b32_e32 v17, 0xbab64f3b
	v_fmac_f32_e32 v34, 0xb94c1982, v25
	v_div_fixup_f32 v12, v15, v13, v14
	v_div_scale_f32 v13, vcc, s8, v6, s8
	v_div_scale_f32 v15, s[4:5], v24, v24, v16
	v_div_scale_f32 v19, s[4:5], v16, v24, v16
	v_fma_f32 v21, -v37, v18, 1.0
	v_fmac_f32_e32 v18, v21, v18
	v_fmac_f32_e32 v17, 0x37d75334, v25
	v_mov_b32_e32 v20, 0x3d2aabf7
	v_fma_f32 v14, v25, v34, v35
	v_fma_f32 v17, v25, v17, v20
	v_mov_b32_e32 v23, 0xbf000004
	v_mul_f32_e32 v14, v25, v14
	v_fma_f32 v17, v25, v17, v23
	v_fmac_f32_e32 v9, v9, v14
	v_mul_f32_e32 v21, v13, v18
	v_fma_f32 v22, -v37, v21, v13
	v_fmac_f32_e32 v21, v22, v18
	v_rcp_f32_e32 v22, v15
	v_fma_f32 v13, -v37, v21, v13
	v_div_fmas_f32 v13, v13, v18, v21
	s_mov_b64 vcc, s[4:5]
	v_fma_f32 v18, -v15, v22, 1.0
	v_fmac_f32_e32 v22, v18, v22
	v_mul_f32_e32 v18, v19, v22
	v_fma_f32 v21, -v15, v18, v19
	v_fmac_f32_e32 v18, v21, v22
	v_fma_f32 v15, -v15, v18, v19
	v_div_fmas_f32 v15, v15, v22, v18
	v_and_b32_e32 v18, 1, v8
	v_lshlrev_b32_e32 v8, 30, v8
	v_fma_f32 v17, v25, v17, 1.0
	v_cmp_eq_u32_e32 vcc, 0, v18
	v_and_b32_e32 v8, 0x80000000, v8
	v_cndmask_b32_e32 v9, v17, v9, vcc
	v_xor_b32_e32 v5, v5, v8
	s_movk_i32 s4, 0x1f8
	v_xor_b32_e32 v5, v5, v9
	v_mov_b32_e32 v8, 0x7fc00000
	v_cmp_class_f32_e64 vcc, v4, s4
	v_cndmask_b32_e32 v4, v8, v5, vcc
	v_div_fixup_f32 v5, v13, v6, s8
	v_mov_b32_e32 v14, 0xbab64f3b
	v_div_fixup_f32 v9, v15, v24, v16
	v_mul_f32_e32 v5, v5, v9
	v_mul_f32_e32 v9, v11, v11
	v_fmac_f32_e32 v33, 0xb94c1982, v9
	v_fmac_f32_e32 v35, v9, v33
	v_fmac_f32_e32 v14, 0x37d75334, v9
	v_mul_f32_e32 v13, v9, v35
	v_fmac_f32_e32 v20, v9, v14
	v_fmac_f32_e32 v11, v11, v13
	;; [unrolled: 1-line block ×3, first 2 shown]
	v_and_b32_e32 v13, 1, v10
	v_fma_f32 v9, v9, v23, 1.0
	v_cmp_eq_u32_e64 s[4:5], 0, v13
	v_lshlrev_b32_e32 v10, 30, v10
	v_cndmask_b32_e64 v9, -v11, v9, s[4:5]
	v_and_b32_e32 v10, 0x80000000, v10
	v_xor_b32_e32 v9, v10, v9
	s_mov_b32 s4, 0xf800000
	v_cndmask_b32_e32 v8, v8, v9, vcc
	v_mul_f32_e32 v9, 0x4f800000, v6
	v_cmp_gt_f32_e32 vcc, s4, v6
	v_cndmask_b32_e32 v6, v6, v9, vcc
	v_sqrt_f32_e32 v9, v6
	v_mul_f32_e32 v5, v5, v8
	v_fmac_f32_e32 v5, v12, v4
	v_mul_f32_e32 v4, 0x3f4c422a, v5
	v_add_u32_e32 v5, -1, v9
	v_fma_f32 v8, -v5, v9, v6
	v_cmp_ge_f32_e64 s[4:5], 0, v8
	v_add_u32_e32 v8, 1, v9
	v_cndmask_b32_e64 v5, v9, v5, s[4:5]
	v_fma_f32 v9, -v8, v9, v6
	v_cmp_lt_f32_e64 s[4:5], 0, v9
	v_cndmask_b32_e64 v5, v5, v8, s[4:5]
	v_mul_f32_e32 v8, 0x37800000, v5
	v_cndmask_b32_e32 v5, v5, v8, vcc
	v_mov_b32_e32 v8, 0x260
	v_cmp_class_f32_e32 vcc, v6, v8
	v_cndmask_b32_e32 v5, v5, v6, vcc
	v_div_scale_f32 v6, s[4:5], v5, v5, v4
	v_div_scale_f32 v8, vcc, v4, v5, v4
	v_rcp_f32_e32 v9, v6
	v_fma_f32 v10, -v6, v9, 1.0
	v_fmac_f32_e32 v9, v10, v9
	v_mul_f32_e32 v10, v8, v9
	v_fma_f32 v11, -v6, v10, v8
	v_fmac_f32_e32 v10, v11, v9
	v_fma_f32 v6, -v6, v10, v8
	v_div_fmas_f32 v6, v6, v9, v10
	v_div_fixup_f32 v4, v6, v5, v4
.LBB17_43:
	s_or_b64 exec, exec, s[14:15]
	s_mov_b32 s4, 0x40a00000
	s_waitcnt vmcnt(0)
	v_cmp_ge_f32_e32 vcc, s4, v1
                                        ; implicit-def: $vgpr5
	s_and_saveexec_b64 s[4:5], vcc
	s_xor_b64 s[8:9], exec, s[4:5]
	s_cbranch_execz .LBB17_53
; %bb.44:
	v_cmp_neq_f32_e32 vcc, 0, v1
	v_mov_b32_e32 v5, 0xff800000
	s_and_saveexec_b64 s[10:11], vcc
	s_cbranch_execz .LBB17_52
; %bb.45:
	v_cmp_ngt_f32_e32 vcc, 0, v1
	v_mov_b32_e32 v5, 0x7fc00000
	s_and_saveexec_b64 s[14:15], vcc
	s_cbranch_execz .LBB17_51
; %bb.46:
	v_mul_f32_e32 v5, v1, v1
	s_mov_b32 s4, 0x3727c5ac
	v_mul_f32_e32 v8, 0, v5
	v_cmp_ngt_f32_e32 vcc, s4, v1
                                        ; implicit-def: $vgpr6
	s_and_saveexec_b64 s[4:5], vcc
	s_xor_b64 s[4:5], exec, s[4:5]
	s_cbranch_execz .LBB17_48
; %bb.47:
	v_add_f32_e32 v6, 0xcf8ee29d, v8
	v_mov_b32_e32 v9, 0x53e3ba8e
	v_fmac_f32_e32 v9, v5, v6
	v_mov_b32_e32 v6, 0xd762b0a7
	v_fmac_f32_e32 v6, v5, v9
	v_add_f32_e32 v9, 0x43f9c815, v8
	v_mov_b32_e32 v10, 0x4829b65a
	v_fmac_f32_e32 v10, v5, v9
	v_mov_b32_e32 v9, 0x4c38c9a1
	v_fmac_f32_e32 v9, v5, v10
	;; [unrolled: 2-line block ×8, first 2 shown]
	v_add_f32_e32 v6, 0xc0b90fdc, v5
	v_add_f32_e32 v11, 0xc1f3c525, v5
	v_mul_f32_e32 v6, v6, v11
	v_mul_f32_e32 v6, v6, v9
	v_div_scale_f32 v9, s[20:21], v10, v10, v6
	v_div_scale_f32 v11, vcc, v6, v10, v6
	v_rcp_f32_e32 v12, v9
	v_fma_f32 v13, -v9, v12, 1.0
	v_fmac_f32_e32 v12, v13, v12
	v_mul_f32_e32 v13, v11, v12
	v_fma_f32 v14, -v9, v13, v11
	v_fmac_f32_e32 v13, v14, v12
	v_fma_f32 v9, -v9, v13, v11
	v_div_fmas_f32 v9, v9, v12, v13
	v_div_fixup_f32 v6, v9, v10, v6
.LBB17_48:
	s_andn2_saveexec_b64 s[4:5], s[4:5]
; %bb.49:
	s_mov_b32 s20, 0xbe800000
	v_fma_f32 v6, v5, s20, 1.0
; %bb.50:
	s_or_b64 exec, exec, s[4:5]
	v_add_f32_e32 v9, 0x4673a1bf, v8
	v_mov_b32_e32 v10, 0xcb5fc0fa
	v_fmac_f32_e32 v10, v5, v9
	v_mov_b32_e32 v9, 0x4fa1fbc8
	v_fmac_f32_e32 v9, v5, v10
	v_mov_b32_e32 v10, 0xd364abdf
	v_fmac_f32_e32 v10, v5, v9
	v_mov_b32_e32 v9, 0x569f5392
	v_fmac_f32_e32 v9, v5, v10
	v_mov_b32_e32 v10, 0xd945090f
	v_fmac_f32_e32 v10, v5, v9
	v_mov_b32_e32 v9, 0x5b1d4a5b
	v_fmac_f32_e32 v9, v5, v10
	v_add_f32_e32 v8, 0x44822913, v8
	v_mov_b32_e32 v10, 0x4918dbb5
	v_fmac_f32_e32 v10, v5, v8
	v_mov_b32_e32 v8, 0x4d803b1b
	v_fmac_f32_e32 v8, v5, v10
	;; [unrolled: 2-line block ×7, first 2 shown]
	v_div_scale_f32 v5, s[4:5], v8, v8, v10
	v_div_scale_f32 v9, vcc, v10, v8, v10
	s_mov_b32 s4, 0x800000
	v_rcp_f32_e32 v11, v5
	v_fma_f32 v12, -v5, v11, 1.0
	v_fmac_f32_e32 v11, v12, v11
	v_mul_f32_e32 v12, v9, v11
	v_fma_f32 v13, -v5, v12, v9
	v_fmac_f32_e32 v12, v13, v11
	v_fma_f32 v5, -v5, v12, v9
	v_div_fmas_f32 v5, v5, v11, v12
	v_cmp_gt_f32_e32 vcc, s4, v1
	v_cndmask_b32_e64 v9, 0, 32, vcc
	v_ldexp_f32 v9, v1, v9
	v_log_f32_e32 v9, v9
	s_mov_b32 s4, 0x3f317217
	v_mul_f32_e32 v11, 0x3f317217, v9
	v_fma_f32 v11, v9, s4, -v11
	v_fmac_f32_e32 v11, 0x3377d1cf, v9
	s_mov_b32 s4, 0x7f800000
	v_fmac_f32_e32 v11, 0x3f317217, v9
	v_cmp_lt_f32_e64 s[4:5], |v9|, s4
	v_div_fixup_f32 v5, v5, v8, v10
	v_cndmask_b32_e64 v8, v9, v11, s[4:5]
	v_mov_b32_e32 v9, 0x41b17218
	v_cndmask_b32_e32 v9, 0, v9, vcc
	v_sub_f32_e32 v8, v8, v9
	v_mul_f32_e32 v8, 0x3f22f983, v8
	v_fmac_f32_e32 v5, v8, v6
.LBB17_51:
	s_or_b64 exec, exec, s[14:15]
.LBB17_52:
	s_or_b64 exec, exec, s[10:11]
.LBB17_53:
	s_andn2_saveexec_b64 s[14:15], s[8:9]
	s_cbranch_execz .LBB17_63
; %bb.54:
	v_add_f32_e32 v5, 0xbf490fdb, v1
	v_and_b32_e32 v6, 0x7fffffff, v5
	s_brev_b32 s4, 18
	v_cmp_nlt_f32_e64 s[20:21], |v5|, s4
	v_lshrrev_b32_e32 v12, 23, v6
                                        ; implicit-def: $vgpr8
                                        ; implicit-def: $vgpr9
	s_and_saveexec_b64 s[4:5], s[20:21]
	s_xor_b64 s[22:23], exec, s[4:5]
	s_cbranch_execz .LBB17_56
; %bb.55:
	v_and_b32_e32 v8, 0x7fffff, v6
	v_or_b32_e32 v11, 0x800000, v8
	s_mov_b32 s4, 0xfe5163ab
	v_mad_u64_u32 v[8:9], s[4:5], v11, s4, 0
	v_mov_b32_e32 v10, 0
	s_mov_b32 s4, 0x3c439041
	v_mad_u64_u32 v[13:14], s[4:5], v11, s4, v[9:10]
	s_mov_b32 s4, 0xdb629599
	v_add_u32_e32 v18, 0xffffff88, v12
	v_mov_b32_e32 v9, v14
	v_mad_u64_u32 v[14:15], s[4:5], v11, s4, v[9:10]
	s_mov_b32 s4, 0xf534ddc0
	v_not_b32_e32 v19, 63
	v_mov_b32_e32 v9, v15
	v_mad_u64_u32 v[15:16], s[4:5], v11, s4, v[9:10]
	s_mov_b32 s4, 0xfc2757d1
	v_cmp_lt_u32_e32 vcc, 63, v18
	v_mov_b32_e32 v9, v16
	v_mad_u64_u32 v[16:17], s[4:5], v11, s4, v[9:10]
	v_cndmask_b32_e32 v9, 0, v19, vcc
	v_add_u32_e32 v19, v9, v18
	v_mov_b32_e32 v9, v17
	s_mov_b32 s4, 0x4e441529
	v_mad_u64_u32 v[17:18], s[4:5], v11, s4, v[9:10]
	v_not_b32_e32 v20, 31
	v_cmp_lt_u32_e64 s[4:5], 31, v19
	v_cndmask_b32_e64 v9, 0, v20, s[4:5]
	v_add_u32_e32 v19, v9, v19
	v_mov_b32_e32 v9, v18
	s_mov_b32 s8, 0xa2f9836e
	v_mad_u64_u32 v[9:10], s[8:9], v11, s8, v[9:10]
	v_cmp_lt_u32_e64 s[8:9], 31, v19
	v_cndmask_b32_e64 v11, 0, v20, s[8:9]
	v_cndmask_b32_e32 v18, v17, v15, vcc
	v_cndmask_b32_e32 v9, v9, v16, vcc
	;; [unrolled: 1-line block ×3, first 2 shown]
	v_add_u32_e32 v11, v11, v19
	v_cndmask_b32_e64 v19, v9, v18, s[4:5]
	v_cndmask_b32_e64 v9, v10, v9, s[4:5]
	v_cndmask_b32_e32 v10, v16, v14, vcc
	v_cndmask_b32_e64 v16, v18, v10, s[4:5]
	v_cndmask_b32_e64 v9, v9, v19, s[8:9]
	v_cndmask_b32_e64 v17, v19, v16, s[8:9]
	v_sub_u32_e32 v18, 32, v11
	v_alignbit_b32 v19, v9, v17, v18
	v_cmp_eq_u32_e64 s[10:11], 0, v11
	v_cndmask_b32_e64 v11, v19, v9, s[10:11]
	v_cndmask_b32_e32 v9, v15, v13, vcc
	v_cndmask_b32_e64 v10, v10, v9, s[4:5]
	v_cndmask_b32_e64 v13, v16, v10, s[8:9]
	v_alignbit_b32 v15, v17, v13, v18
	v_cndmask_b32_e32 v8, v14, v8, vcc
	v_cndmask_b32_e64 v15, v15, v17, s[10:11]
	v_bfe_u32 v19, v11, 29, 1
	v_cndmask_b32_e64 v8, v9, v8, s[4:5]
	v_alignbit_b32 v16, v11, v15, 30
	v_sub_u32_e32 v20, 0, v19
	v_cndmask_b32_e64 v8, v10, v8, s[8:9]
	v_xor_b32_e32 v16, v16, v20
	v_alignbit_b32 v9, v13, v8, v18
	v_cndmask_b32_e64 v9, v9, v13, s[10:11]
	v_ffbh_u32_e32 v13, v16
	v_alignbit_b32 v10, v15, v9, 30
	v_min_u32_e32 v13, 32, v13
	v_alignbit_b32 v8, v9, v8, 30
	v_xor_b32_e32 v10, v10, v20
	v_sub_u32_e32 v14, 31, v13
	v_xor_b32_e32 v8, v8, v20
	v_alignbit_b32 v15, v16, v10, v14
	v_alignbit_b32 v8, v10, v8, v14
	;; [unrolled: 1-line block ×3, first 2 shown]
	v_ffbh_u32_e32 v10, v9
	v_min_u32_e32 v10, 32, v10
	v_lshrrev_b32_e32 v17, 29, v11
	v_not_b32_e32 v14, v10
	v_alignbit_b32 v8, v9, v8, v14
	v_lshlrev_b32_e32 v9, 31, v17
	v_or_b32_e32 v14, 0x33000000, v9
	v_add_lshl_u32 v10, v10, v13, 23
	v_lshrrev_b32_e32 v8, 9, v8
	v_sub_u32_e32 v10, v14, v10
	v_or_b32_e32 v9, 0.5, v9
	v_lshlrev_b32_e32 v13, 23, v13
	v_or_b32_e32 v8, v10, v8
	v_lshrrev_b32_e32 v10, 9, v15
	v_sub_u32_e32 v9, v9, v13
	v_or_b32_e32 v9, v10, v9
	s_mov_b32 s4, 0x3fc90fda
	v_mul_f32_e32 v10, 0x3fc90fda, v9
	v_fma_f32 v13, v9, s4, -v10
	v_fmac_f32_e32 v13, 0x33a22168, v9
	v_fmac_f32_e32 v13, 0x3fc90fda, v8
	v_lshrrev_b32_e32 v8, 30, v11
	v_add_f32_e32 v9, v10, v13
	v_add_u32_e32 v8, v19, v8
	s_andn2_saveexec_b64 s[4:5], s[22:23]
	s_cbranch_execz .LBB17_58
	s_branch .LBB17_57
.LBB17_56:
	s_andn2_saveexec_b64 s[4:5], s[22:23]
	s_cbranch_execz .LBB17_58
.LBB17_57:
	s_mov_b32 s8, 0x3f22f983
	v_mul_f32_e64 v8, |v5|, s8
	v_rndne_f32_e32 v10, v8
	s_mov_b32 s8, 0xbfc90fda
	v_cvt_i32_f32_e32 v8, v10
	v_fma_f32 v9, v10, s8, |v5|
	v_fmac_f32_e32 v9, 0xb3a22168, v10
	v_fmac_f32_e32 v9, 0xa7c234c4, v10
.LBB17_58:
	s_or_b64 exec, exec, s[4:5]
                                        ; implicit-def: $vgpr10
                                        ; implicit-def: $vgpr11
	s_and_saveexec_b64 s[4:5], s[20:21]
	s_xor_b64 s[20:21], exec, s[4:5]
	s_cbranch_execz .LBB17_60
; %bb.59:
	v_and_b32_e32 v10, 0x7fffff, v6
	v_or_b32_e32 v19, 0x800000, v10
	s_mov_b32 s4, 0xfe5163ab
	v_mad_u64_u32 v[10:11], s[4:5], v19, s4, 0
	v_mov_b32_e32 v14, 0
	s_mov_b32 s4, 0x3c439041
	v_mov_b32_e32 v13, v11
	v_mad_u64_u32 v[15:16], s[4:5], v19, s4, v[13:14]
	s_mov_b32 s4, 0xdb629599
	v_add_u32_e32 v20, 0xffffff88, v12
	v_mov_b32_e32 v13, v16
	v_mad_u64_u32 v[16:17], s[4:5], v19, s4, v[13:14]
	s_mov_b32 s4, 0xf534ddc0
	v_not_b32_e32 v21, 63
	v_mov_b32_e32 v13, v17
	v_mad_u64_u32 v[17:18], s[4:5], v19, s4, v[13:14]
	s_mov_b32 s4, 0xfc2757d1
	v_cmp_lt_u32_e32 vcc, 63, v20
	v_mov_b32_e32 v13, v18
	v_mad_u64_u32 v[11:12], s[4:5], v19, s4, v[13:14]
	v_cndmask_b32_e32 v13, 0, v21, vcc
	v_add_u32_e32 v18, v13, v20
	v_mov_b32_e32 v13, v12
	s_mov_b32 s4, 0x4e441529
	v_mad_u64_u32 v[12:13], s[4:5], v19, s4, v[13:14]
	v_not_b32_e32 v20, 31
	v_cmp_lt_u32_e64 s[4:5], 31, v18
	s_mov_b32 s8, 0xa2f9836e
	v_cndmask_b32_e64 v21, 0, v20, s[4:5]
	v_mad_u64_u32 v[13:14], s[8:9], v19, s8, v[13:14]
	v_add_u32_e32 v18, v21, v18
	v_cmp_lt_u32_e64 s[8:9], 31, v18
	v_cndmask_b32_e64 v19, 0, v20, s[8:9]
	v_add_u32_e32 v18, v19, v18
	v_cndmask_b32_e32 v19, v12, v17, vcc
	v_cndmask_b32_e32 v13, v13, v11, vcc
	;; [unrolled: 1-line block ×4, first 2 shown]
	v_cndmask_b32_e64 v20, v13, v19, s[4:5]
	v_cndmask_b32_e64 v12, v12, v13, s[4:5]
	;; [unrolled: 1-line block ×3, first 2 shown]
	v_cndmask_b32_e32 v15, v17, v15, vcc
	v_cndmask_b32_e64 v12, v12, v20, s[8:9]
	v_cndmask_b32_e64 v14, v20, v13, s[8:9]
	v_sub_u32_e32 v19, 32, v18
	v_cndmask_b32_e64 v11, v11, v15, s[4:5]
	v_alignbit_b32 v20, v12, v14, v19
	v_cmp_eq_u32_e64 s[10:11], 0, v18
	v_cndmask_b32_e64 v13, v13, v11, s[8:9]
	v_cndmask_b32_e32 v10, v16, v10, vcc
	v_cndmask_b32_e64 v12, v20, v12, s[10:11]
	v_alignbit_b32 v17, v14, v13, v19
	v_cndmask_b32_e64 v10, v15, v10, s[4:5]
	v_cndmask_b32_e64 v14, v17, v14, s[10:11]
	v_bfe_u32 v20, v12, 29, 1
	v_cndmask_b32_e64 v10, v11, v10, s[8:9]
	v_alignbit_b32 v17, v12, v14, 30
	v_sub_u32_e32 v21, 0, v20
	v_alignbit_b32 v11, v13, v10, v19
	v_xor_b32_e32 v17, v17, v21
	v_cndmask_b32_e64 v11, v11, v13, s[10:11]
	v_alignbit_b32 v13, v14, v11, 30
	v_ffbh_u32_e32 v14, v17
	v_min_u32_e32 v14, 32, v14
	v_alignbit_b32 v10, v11, v10, 30
	v_xor_b32_e32 v13, v13, v21
	v_sub_u32_e32 v15, 31, v14
	v_xor_b32_e32 v10, v10, v21
	v_alignbit_b32 v16, v17, v13, v15
	v_alignbit_b32 v10, v13, v10, v15
	;; [unrolled: 1-line block ×3, first 2 shown]
	v_ffbh_u32_e32 v13, v11
	v_min_u32_e32 v13, 32, v13
	v_lshrrev_b32_e32 v18, 29, v12
	v_not_b32_e32 v15, v13
	v_alignbit_b32 v10, v11, v10, v15
	v_lshlrev_b32_e32 v11, 31, v18
	v_or_b32_e32 v15, 0x33000000, v11
	v_add_lshl_u32 v13, v13, v14, 23
	v_lshrrev_b32_e32 v10, 9, v10
	v_sub_u32_e32 v13, v15, v13
	v_or_b32_e32 v11, 0.5, v11
	v_lshlrev_b32_e32 v14, 23, v14
	v_or_b32_e32 v10, v13, v10
	v_lshrrev_b32_e32 v13, 9, v16
	v_sub_u32_e32 v11, v11, v14
	v_or_b32_e32 v11, v13, v11
	s_mov_b32 s4, 0x3fc90fda
	v_mul_f32_e32 v13, 0x3fc90fda, v11
	v_fma_f32 v14, v11, s4, -v13
	v_fmac_f32_e32 v14, 0x33a22168, v11
	v_fmac_f32_e32 v14, 0x3fc90fda, v10
	v_lshrrev_b32_e32 v10, 30, v12
	v_add_f32_e32 v11, v13, v14
	v_add_u32_e32 v10, v20, v10
	s_andn2_saveexec_b64 s[4:5], s[20:21]
	s_cbranch_execnz .LBB17_61
	s_branch .LBB17_62
.LBB17_60:
	s_andn2_saveexec_b64 s[4:5], s[20:21]
	s_cbranch_execz .LBB17_62
.LBB17_61:
	s_mov_b32 s8, 0x3f22f983
	v_mul_f32_e64 v10, |v5|, s8
	v_rndne_f32_e32 v12, v10
	s_mov_b32 s8, 0xbfc90fda
	v_cvt_i32_f32_e32 v10, v12
	v_fma_f32 v11, v12, s8, |v5|
	v_fmac_f32_e32 v11, 0xb3a22168, v12
	v_fmac_f32_e32 v11, 0xa7c234c4, v12
.LBB17_62:
	s_or_b64 exec, exec, s[4:5]
	v_mul_f32_e32 v12, v1, v1
	s_mov_b32 s8, 0x41c80000
	v_div_scale_f32 v13, s[4:5], v12, v12, s8
	v_div_scale_f32 v14, vcc, s8, v12, s8
	v_mov_b32_e32 v15, 0x3a50e985
	v_mov_b32_e32 v17, 0x3da9a586
	;; [unrolled: 1-line block ×12, first 2 shown]
	v_rcp_f32_e32 v16, v13
	v_mov_b32_e32 v30, 0xc331ae61
	v_mov_b32_e32 v31, 0xc31313d7
	;; [unrolled: 1-line block ×3, first 2 shown]
	v_fma_f32 v20, -v13, v16, 1.0
	v_fmac_f32_e32 v16, v20, v16
	v_mul_f32_e32 v20, v14, v16
	v_fma_f32 v21, -v13, v20, v14
	v_fmac_f32_e32 v20, v21, v16
	v_fma_f32 v13, -v13, v20, v14
	v_div_fmas_f32 v13, v13, v16, v20
	v_mov_b32_e32 v20, 0x3a725406
	v_mov_b32_e32 v21, 0x3daf5e2d
	;; [unrolled: 1-line block ×6, first 2 shown]
	v_xor_b32_e32 v6, v6, v5
	v_mov_b32_e32 v33, 0x3c0881c4
	v_div_fixup_f32 v12, v13, v12, s8
	v_fmac_f32_e32 v15, 0, v12
	v_fmac_f32_e32 v20, 0, v12
	;; [unrolled: 1-line block ×12, first 2 shown]
	v_fma_f32 v13, v12, v25, 1.0
	v_fma_f32 v14, v12, v16, 1.0
	v_div_scale_f32 v15, s[4:5], v13, v13, v14
	v_div_scale_f32 v20, vcc, v14, v13, v14
	v_mov_b32_e32 v17, 0x4280a2ba
	s_mov_b32 s8, 0x40a00000
	v_fmac_f32_e32 v26, 0, v12
	v_mov_b32_e32 v18, 0x44561b86
	v_div_scale_f32 v37, s[4:5], v1, v1, s8
	v_fmac_f32_e32 v17, 0, v12
	v_fmac_f32_e32 v27, v12, v26
	v_mov_b32_e32 v19, 0x4572a66e
	v_fmac_f32_e32 v18, v12, v17
	v_fmac_f32_e32 v28, v12, v27
	v_mov_b32_e32 v21, 0x45e243be
	v_rcp_f32_e32 v36, v15
	v_fmac_f32_e32 v19, v12, v18
	v_fmac_f32_e32 v29, v12, v28
	v_mov_b32_e32 v22, 0x45b955d1
	v_fma_f32 v38, -v15, v36, 1.0
	v_fmac_f32_e32 v36, v38, v36
	v_mul_f32_e32 v38, v20, v36
	v_fma_f32 v39, -v15, v38, v20
	v_fmac_f32_e32 v38, v39, v36
	v_fma_f32 v15, -v15, v38, v20
	v_div_fmas_f32 v15, v15, v36, v38
	v_fmac_f32_e32 v21, v12, v19
	v_fmac_f32_e32 v30, v12, v29
	v_mov_b32_e32 v23, 0x4500e17e
	v_fmac_f32_e32 v22, v12, v21
	v_fmac_f32_e32 v31, v12, v30
	v_mov_b32_e32 v16, 0xc0c19ac7
	v_mov_b32_e32 v24, 0x43720178
	v_fmac_f32_e32 v23, v12, v22
	v_fmac_f32_e32 v32, v12, v31
	;; [unrolled: 1-line block ×4, first 2 shown]
	v_rcp_f32_e32 v19, v37
	v_mul_f32_e32 v25, v9, v9
	v_mov_b32_e32 v17, 0xbab64f3b
	v_fmac_f32_e32 v34, 0xb94c1982, v25
	v_div_fixup_f32 v12, v15, v13, v14
	v_div_scale_f32 v14, vcc, s8, v1, s8
	v_div_scale_f32 v15, s[4:5], v24, v24, v16
	v_div_scale_f32 v18, s[4:5], v16, v24, v16
	v_fma_f32 v22, -v37, v19, 1.0
	v_fmac_f32_e32 v19, v22, v19
	v_fmac_f32_e32 v17, 0x37d75334, v25
	v_mov_b32_e32 v20, 0x3d2aabf7
	v_fma_f32 v13, v25, v34, v35
	v_fma_f32 v17, v25, v17, v20
	v_mov_b32_e32 v21, 0xbf000004
	v_mul_f32_e32 v13, v25, v13
	v_fma_f32 v17, v25, v17, v21
	v_fmac_f32_e32 v9, v9, v13
	v_mul_f32_e32 v22, v14, v19
	v_fma_f32 v23, -v37, v22, v14
	v_fmac_f32_e32 v22, v23, v19
	v_rcp_f32_e32 v23, v15
	v_fma_f32 v14, -v37, v22, v14
	v_div_fmas_f32 v14, v14, v19, v22
	s_mov_b64 vcc, s[4:5]
	v_fma_f32 v19, -v15, v23, 1.0
	v_fmac_f32_e32 v23, v19, v23
	v_mul_f32_e32 v19, v18, v23
	v_fma_f32 v22, -v15, v19, v18
	v_fmac_f32_e32 v19, v22, v23
	v_fma_f32 v15, -v15, v19, v18
	v_div_fmas_f32 v15, v15, v23, v19
	v_and_b32_e32 v18, 1, v8
	v_lshlrev_b32_e32 v8, 30, v8
	v_fma_f32 v17, v25, v17, 1.0
	v_cmp_eq_u32_e32 vcc, 0, v18
	v_and_b32_e32 v8, 0x80000000, v8
	v_cndmask_b32_e32 v9, v17, v9, vcc
	v_xor_b32_e32 v6, v6, v8
	s_movk_i32 s4, 0x1f8
	v_xor_b32_e32 v6, v6, v9
	v_mov_b32_e32 v8, 0x7fc00000
	v_cmp_class_f32_e64 vcc, v5, s4
	v_cndmask_b32_e32 v5, v8, v6, vcc
	v_div_fixup_f32 v6, v14, v1, s8
	v_mov_b32_e32 v13, 0xbab64f3b
	v_div_fixup_f32 v9, v15, v24, v16
	v_mul_f32_e32 v6, v6, v9
	v_mul_f32_e32 v9, v11, v11
	v_fmac_f32_e32 v33, 0xb94c1982, v9
	v_fmac_f32_e32 v13, 0x37d75334, v9
	;; [unrolled: 1-line block ×4, first 2 shown]
	v_mul_f32_e32 v14, v9, v35
	v_fmac_f32_e32 v21, v9, v20
	v_and_b32_e32 v13, 1, v10
	v_fmac_f32_e32 v11, v11, v14
	v_fma_f32 v9, v9, v21, 1.0
	v_cmp_eq_u32_e64 s[4:5], 0, v13
	v_lshlrev_b32_e32 v10, 30, v10
	v_cndmask_b32_e64 v9, -v11, v9, s[4:5]
	v_and_b32_e32 v10, 0x80000000, v10
	v_xor_b32_e32 v9, v10, v9
	s_mov_b32 s4, 0xf800000
	v_cndmask_b32_e32 v8, v8, v9, vcc
	v_mul_f32_e32 v9, 0x4f800000, v1
	v_cmp_gt_f32_e32 vcc, s4, v1
	v_cndmask_b32_e32 v1, v1, v9, vcc
	v_sqrt_f32_e32 v9, v1
	v_mul_f32_e32 v6, v6, v8
	v_fmac_f32_e32 v6, v12, v5
	v_mul_f32_e32 v5, 0x3f4c422a, v6
	v_add_u32_e32 v6, -1, v9
	v_fma_f32 v8, -v6, v9, v1
	v_cmp_ge_f32_e64 s[4:5], 0, v8
	v_add_u32_e32 v8, 1, v9
	v_cndmask_b32_e64 v6, v9, v6, s[4:5]
	v_fma_f32 v9, -v8, v9, v1
	v_cmp_lt_f32_e64 s[4:5], 0, v9
	v_cndmask_b32_e64 v6, v6, v8, s[4:5]
	v_mul_f32_e32 v8, 0x37800000, v6
	v_cndmask_b32_e32 v6, v6, v8, vcc
	v_mov_b32_e32 v8, 0x260
	v_cmp_class_f32_e32 vcc, v1, v8
	v_cndmask_b32_e32 v1, v6, v1, vcc
	v_div_scale_f32 v6, s[4:5], v1, v1, v5
	v_div_scale_f32 v8, vcc, v5, v1, v5
	v_rcp_f32_e32 v9, v6
	v_fma_f32 v10, -v6, v9, 1.0
	v_fmac_f32_e32 v9, v10, v9
	v_mul_f32_e32 v10, v8, v9
	v_fma_f32 v11, -v6, v10, v8
	v_fmac_f32_e32 v10, v11, v9
	v_fma_f32 v6, -v6, v10, v8
	v_div_fmas_f32 v6, v6, v9, v10
	v_div_fixup_f32 v5, v6, v1, v5
.LBB17_63:
	s_or_b64 exec, exec, s[14:15]
	s_mov_b32 s4, 0x40a00000
	v_cmp_ge_f32_e32 vcc, s4, v2
	s_and_saveexec_b64 s[4:5], vcc
	s_xor_b64 s[8:9], exec, s[4:5]
	s_cbranch_execz .LBB17_73
; %bb.64:
	v_cmp_neq_f32_e32 vcc, 0, v2
	v_mov_b32_e32 v6, 0xff800000
	s_and_saveexec_b64 s[10:11], vcc
	s_cbranch_execz .LBB17_72
; %bb.65:
	v_cmp_ngt_f32_e32 vcc, 0, v2
	v_mov_b32_e32 v6, 0x7fc00000
	s_and_saveexec_b64 s[14:15], vcc
	s_cbranch_execz .LBB17_71
; %bb.66:
	v_mul_f32_e32 v1, v2, v2
	s_mov_b32 s4, 0x3727c5ac
	v_mul_f32_e32 v6, 0, v1
	v_cmp_ngt_f32_e32 vcc, s4, v2
                                        ; implicit-def: $vgpr8
	s_and_saveexec_b64 s[4:5], vcc
	s_xor_b64 s[4:5], exec, s[4:5]
	s_cbranch_execz .LBB17_68
; %bb.67:
	v_add_f32_e32 v8, 0xcf8ee29d, v6
	v_mov_b32_e32 v9, 0x53e3ba8e
	v_fmac_f32_e32 v9, v1, v8
	v_mov_b32_e32 v8, 0xd762b0a7
	v_fmac_f32_e32 v8, v1, v9
	v_add_f32_e32 v9, 0x43f9c815, v6
	v_mov_b32_e32 v10, 0x4829b65a
	v_fmac_f32_e32 v10, v1, v9
	v_mov_b32_e32 v9, 0x4c38c9a1
	v_fmac_f32_e32 v9, v1, v10
	;; [unrolled: 2-line block ×8, first 2 shown]
	v_add_f32_e32 v8, 0xc0b90fdc, v1
	v_add_f32_e32 v11, 0xc1f3c525, v1
	v_mul_f32_e32 v8, v8, v11
	v_mul_f32_e32 v8, v8, v9
	v_div_scale_f32 v9, s[20:21], v10, v10, v8
	v_div_scale_f32 v11, vcc, v8, v10, v8
	v_rcp_f32_e32 v12, v9
	v_fma_f32 v13, -v9, v12, 1.0
	v_fmac_f32_e32 v12, v13, v12
	v_mul_f32_e32 v13, v11, v12
	v_fma_f32 v14, -v9, v13, v11
	v_fmac_f32_e32 v13, v14, v12
	v_fma_f32 v9, -v9, v13, v11
	v_div_fmas_f32 v9, v9, v12, v13
	v_div_fixup_f32 v8, v9, v10, v8
.LBB17_68:
	s_andn2_saveexec_b64 s[4:5], s[4:5]
; %bb.69:
	s_mov_b32 s20, 0xbe800000
	v_fma_f32 v8, v1, s20, 1.0
; %bb.70:
	s_or_b64 exec, exec, s[4:5]
	v_add_f32_e32 v9, 0x4673a1bf, v6
	v_mov_b32_e32 v10, 0xcb5fc0fa
	v_fmac_f32_e32 v10, v1, v9
	v_mov_b32_e32 v9, 0x4fa1fbc8
	v_fmac_f32_e32 v9, v1, v10
	;; [unrolled: 2-line block ×6, first 2 shown]
	v_add_f32_e32 v6, 0x44822913, v6
	v_mov_b32_e32 v10, 0x4918dbb5
	v_fmac_f32_e32 v10, v1, v6
	v_mov_b32_e32 v6, 0x4d803b1b
	v_fmac_f32_e32 v6, v1, v10
	v_mov_b32_e32 v10, 0x51a0eed9
	v_fmac_f32_e32 v10, v1, v6
	v_mov_b32_e32 v6, 0x5593afe6
	v_fmac_f32_e32 v6, v1, v10
	v_mov_b32_e32 v10, 0x59344887
	v_fmac_f32_e32 v10, v1, v6
	v_mov_b32_e32 v6, 0x5c5e92fe
	v_fmac_f32_e32 v6, v1, v10
	v_mov_b32_e32 v10, 0xda836a5b
	v_fmac_f32_e32 v10, v1, v9
	v_div_scale_f32 v1, s[4:5], v6, v6, v10
	v_div_scale_f32 v9, vcc, v10, v6, v10
	s_mov_b32 s4, 0x800000
	v_rcp_f32_e32 v11, v1
	v_fma_f32 v12, -v1, v11, 1.0
	v_fmac_f32_e32 v11, v12, v11
	v_mul_f32_e32 v12, v9, v11
	v_fma_f32 v13, -v1, v12, v9
	v_fmac_f32_e32 v12, v13, v11
	v_fma_f32 v1, -v1, v12, v9
	v_div_fmas_f32 v1, v1, v11, v12
	v_cmp_gt_f32_e32 vcc, s4, v2
	v_cndmask_b32_e64 v9, 0, 32, vcc
	v_ldexp_f32 v2, v2, v9
	v_log_f32_e32 v2, v2
	s_mov_b32 s4, 0x3f317217
	v_mul_f32_e32 v9, 0x3f317217, v2
	v_fma_f32 v9, v2, s4, -v9
	v_fmac_f32_e32 v9, 0x3377d1cf, v2
	s_mov_b32 s4, 0x7f800000
	v_fmac_f32_e32 v9, 0x3f317217, v2
	v_cmp_lt_f32_e64 s[4:5], |v2|, s4
	v_div_fixup_f32 v6, v1, v6, v10
	v_cndmask_b32_e64 v1, v2, v9, s[4:5]
	v_mov_b32_e32 v2, 0x41b17218
	v_cndmask_b32_e32 v2, 0, v2, vcc
	v_sub_f32_e32 v1, v1, v2
	v_mul_f32_e32 v1, 0x3f22f983, v1
	v_fmac_f32_e32 v6, v1, v8
.LBB17_71:
	s_or_b64 exec, exec, s[14:15]
.LBB17_72:
	s_or_b64 exec, exec, s[10:11]
                                        ; implicit-def: $vgpr1_vgpr2
.LBB17_73:
	s_andn2_saveexec_b64 s[14:15], s[8:9]
	s_cbranch_execz .LBB17_83
; %bb.74:
	v_add_f32_e32 v1, 0xbf490fdb, v2
	v_and_b32_e32 v6, 0x7fffffff, v1
	s_brev_b32 s4, 18
	v_cmp_nlt_f32_e64 s[20:21], |v1|, s4
	v_lshrrev_b32_e32 v12, 23, v6
                                        ; implicit-def: $vgpr8
                                        ; implicit-def: $vgpr9
	s_and_saveexec_b64 s[4:5], s[20:21]
	s_xor_b64 s[22:23], exec, s[4:5]
	s_cbranch_execz .LBB17_76
; %bb.75:
	v_and_b32_e32 v8, 0x7fffff, v6
	v_or_b32_e32 v11, 0x800000, v8
	s_mov_b32 s4, 0xfe5163ab
	v_mad_u64_u32 v[8:9], s[4:5], v11, s4, 0
	v_mov_b32_e32 v10, 0
	s_mov_b32 s4, 0x3c439041
	v_mad_u64_u32 v[13:14], s[4:5], v11, s4, v[9:10]
	s_mov_b32 s4, 0xdb629599
	v_add_u32_e32 v18, 0xffffff88, v12
	v_mov_b32_e32 v9, v14
	v_mad_u64_u32 v[14:15], s[4:5], v11, s4, v[9:10]
	s_mov_b32 s4, 0xf534ddc0
	v_not_b32_e32 v19, 63
	v_mov_b32_e32 v9, v15
	v_mad_u64_u32 v[15:16], s[4:5], v11, s4, v[9:10]
	s_mov_b32 s4, 0xfc2757d1
	v_cmp_lt_u32_e32 vcc, 63, v18
	v_mov_b32_e32 v9, v16
	v_mad_u64_u32 v[16:17], s[4:5], v11, s4, v[9:10]
	v_cndmask_b32_e32 v9, 0, v19, vcc
	v_add_u32_e32 v19, v9, v18
	v_mov_b32_e32 v9, v17
	s_mov_b32 s4, 0x4e441529
	v_mad_u64_u32 v[17:18], s[4:5], v11, s4, v[9:10]
	v_not_b32_e32 v20, 31
	v_cmp_lt_u32_e64 s[4:5], 31, v19
	v_cndmask_b32_e64 v9, 0, v20, s[4:5]
	v_add_u32_e32 v19, v9, v19
	v_mov_b32_e32 v9, v18
	s_mov_b32 s8, 0xa2f9836e
	v_mad_u64_u32 v[9:10], s[8:9], v11, s8, v[9:10]
	v_cmp_lt_u32_e64 s[8:9], 31, v19
	v_cndmask_b32_e64 v11, 0, v20, s[8:9]
	v_cndmask_b32_e32 v18, v17, v15, vcc
	v_cndmask_b32_e32 v9, v9, v16, vcc
	;; [unrolled: 1-line block ×3, first 2 shown]
	v_add_u32_e32 v11, v11, v19
	v_cndmask_b32_e64 v19, v9, v18, s[4:5]
	v_cndmask_b32_e64 v9, v10, v9, s[4:5]
	v_cndmask_b32_e32 v10, v16, v14, vcc
	v_cndmask_b32_e64 v16, v18, v10, s[4:5]
	v_cndmask_b32_e64 v9, v9, v19, s[8:9]
	;; [unrolled: 1-line block ×3, first 2 shown]
	v_sub_u32_e32 v18, 32, v11
	v_alignbit_b32 v19, v9, v17, v18
	v_cmp_eq_u32_e64 s[10:11], 0, v11
	v_cndmask_b32_e64 v11, v19, v9, s[10:11]
	v_cndmask_b32_e32 v9, v15, v13, vcc
	v_cndmask_b32_e64 v10, v10, v9, s[4:5]
	v_cndmask_b32_e64 v13, v16, v10, s[8:9]
	v_alignbit_b32 v15, v17, v13, v18
	v_cndmask_b32_e32 v8, v14, v8, vcc
	v_cndmask_b32_e64 v15, v15, v17, s[10:11]
	v_bfe_u32 v19, v11, 29, 1
	v_cndmask_b32_e64 v8, v9, v8, s[4:5]
	v_alignbit_b32 v16, v11, v15, 30
	v_sub_u32_e32 v20, 0, v19
	v_cndmask_b32_e64 v8, v10, v8, s[8:9]
	v_xor_b32_e32 v16, v16, v20
	v_alignbit_b32 v9, v13, v8, v18
	v_cndmask_b32_e64 v9, v9, v13, s[10:11]
	v_ffbh_u32_e32 v13, v16
	v_alignbit_b32 v10, v15, v9, 30
	v_min_u32_e32 v13, 32, v13
	v_alignbit_b32 v8, v9, v8, 30
	v_xor_b32_e32 v10, v10, v20
	v_sub_u32_e32 v14, 31, v13
	v_xor_b32_e32 v8, v8, v20
	v_alignbit_b32 v15, v16, v10, v14
	v_alignbit_b32 v8, v10, v8, v14
	;; [unrolled: 1-line block ×3, first 2 shown]
	v_ffbh_u32_e32 v10, v9
	v_min_u32_e32 v10, 32, v10
	v_lshrrev_b32_e32 v17, 29, v11
	v_not_b32_e32 v14, v10
	v_alignbit_b32 v8, v9, v8, v14
	v_lshlrev_b32_e32 v9, 31, v17
	v_or_b32_e32 v14, 0x33000000, v9
	v_add_lshl_u32 v10, v10, v13, 23
	v_lshrrev_b32_e32 v8, 9, v8
	v_sub_u32_e32 v10, v14, v10
	v_or_b32_e32 v9, 0.5, v9
	v_lshlrev_b32_e32 v13, 23, v13
	v_or_b32_e32 v8, v10, v8
	v_lshrrev_b32_e32 v10, 9, v15
	v_sub_u32_e32 v9, v9, v13
	v_or_b32_e32 v9, v10, v9
	s_mov_b32 s4, 0x3fc90fda
	v_mul_f32_e32 v10, 0x3fc90fda, v9
	v_fma_f32 v13, v9, s4, -v10
	v_fmac_f32_e32 v13, 0x33a22168, v9
	v_fmac_f32_e32 v13, 0x3fc90fda, v8
	v_lshrrev_b32_e32 v8, 30, v11
	v_add_f32_e32 v9, v10, v13
	v_add_u32_e32 v8, v19, v8
	s_andn2_saveexec_b64 s[4:5], s[22:23]
	s_cbranch_execz .LBB17_78
	s_branch .LBB17_77
.LBB17_76:
	s_andn2_saveexec_b64 s[4:5], s[22:23]
	s_cbranch_execz .LBB17_78
.LBB17_77:
	s_mov_b32 s8, 0x3f22f983
	v_mul_f32_e64 v8, |v1|, s8
	v_rndne_f32_e32 v10, v8
	s_mov_b32 s8, 0xbfc90fda
	v_cvt_i32_f32_e32 v8, v10
	v_fma_f32 v9, v10, s8, |v1|
	v_fmac_f32_e32 v9, 0xb3a22168, v10
	v_fmac_f32_e32 v9, 0xa7c234c4, v10
.LBB17_78:
	s_or_b64 exec, exec, s[4:5]
                                        ; implicit-def: $vgpr10
                                        ; implicit-def: $vgpr11
	s_and_saveexec_b64 s[4:5], s[20:21]
	s_xor_b64 s[20:21], exec, s[4:5]
	s_cbranch_execz .LBB17_80
; %bb.79:
	v_and_b32_e32 v10, 0x7fffff, v6
	v_or_b32_e32 v19, 0x800000, v10
	s_mov_b32 s4, 0xfe5163ab
	v_mad_u64_u32 v[10:11], s[4:5], v19, s4, 0
	v_mov_b32_e32 v14, 0
	s_mov_b32 s4, 0x3c439041
	v_mov_b32_e32 v13, v11
	v_mad_u64_u32 v[15:16], s[4:5], v19, s4, v[13:14]
	s_mov_b32 s4, 0xdb629599
	v_add_u32_e32 v20, 0xffffff88, v12
	v_mov_b32_e32 v13, v16
	v_mad_u64_u32 v[16:17], s[4:5], v19, s4, v[13:14]
	s_mov_b32 s4, 0xf534ddc0
	v_not_b32_e32 v21, 63
	v_mov_b32_e32 v13, v17
	v_mad_u64_u32 v[17:18], s[4:5], v19, s4, v[13:14]
	s_mov_b32 s4, 0xfc2757d1
	v_cmp_lt_u32_e32 vcc, 63, v20
	v_mov_b32_e32 v13, v18
	v_mad_u64_u32 v[11:12], s[4:5], v19, s4, v[13:14]
	v_cndmask_b32_e32 v13, 0, v21, vcc
	v_add_u32_e32 v18, v13, v20
	v_mov_b32_e32 v13, v12
	s_mov_b32 s4, 0x4e441529
	v_mad_u64_u32 v[12:13], s[4:5], v19, s4, v[13:14]
	v_not_b32_e32 v20, 31
	v_cmp_lt_u32_e64 s[4:5], 31, v18
	s_mov_b32 s8, 0xa2f9836e
	v_cndmask_b32_e64 v21, 0, v20, s[4:5]
	v_mad_u64_u32 v[13:14], s[8:9], v19, s8, v[13:14]
	v_add_u32_e32 v18, v21, v18
	v_cmp_lt_u32_e64 s[8:9], 31, v18
	v_cndmask_b32_e64 v19, 0, v20, s[8:9]
	v_add_u32_e32 v18, v19, v18
	v_cndmask_b32_e32 v19, v12, v17, vcc
	v_cndmask_b32_e32 v13, v13, v11, vcc
	;; [unrolled: 1-line block ×4, first 2 shown]
	v_cndmask_b32_e64 v20, v13, v19, s[4:5]
	v_cndmask_b32_e64 v12, v12, v13, s[4:5]
	;; [unrolled: 1-line block ×3, first 2 shown]
	v_cndmask_b32_e32 v15, v17, v15, vcc
	v_cndmask_b32_e64 v12, v12, v20, s[8:9]
	v_cndmask_b32_e64 v14, v20, v13, s[8:9]
	v_sub_u32_e32 v19, 32, v18
	v_cndmask_b32_e64 v11, v11, v15, s[4:5]
	v_alignbit_b32 v20, v12, v14, v19
	v_cmp_eq_u32_e64 s[10:11], 0, v18
	v_cndmask_b32_e64 v13, v13, v11, s[8:9]
	v_cndmask_b32_e32 v10, v16, v10, vcc
	v_cndmask_b32_e64 v12, v20, v12, s[10:11]
	v_alignbit_b32 v17, v14, v13, v19
	v_cndmask_b32_e64 v10, v15, v10, s[4:5]
	v_cndmask_b32_e64 v14, v17, v14, s[10:11]
	v_bfe_u32 v20, v12, 29, 1
	v_cndmask_b32_e64 v10, v11, v10, s[8:9]
	v_alignbit_b32 v17, v12, v14, 30
	v_sub_u32_e32 v21, 0, v20
	v_alignbit_b32 v11, v13, v10, v19
	v_xor_b32_e32 v17, v17, v21
	v_cndmask_b32_e64 v11, v11, v13, s[10:11]
	v_alignbit_b32 v13, v14, v11, 30
	v_ffbh_u32_e32 v14, v17
	v_min_u32_e32 v14, 32, v14
	v_alignbit_b32 v10, v11, v10, 30
	v_xor_b32_e32 v13, v13, v21
	v_sub_u32_e32 v15, 31, v14
	v_xor_b32_e32 v10, v10, v21
	v_alignbit_b32 v16, v17, v13, v15
	v_alignbit_b32 v10, v13, v10, v15
	;; [unrolled: 1-line block ×3, first 2 shown]
	v_ffbh_u32_e32 v13, v11
	v_min_u32_e32 v13, 32, v13
	v_lshrrev_b32_e32 v18, 29, v12
	v_not_b32_e32 v15, v13
	v_alignbit_b32 v10, v11, v10, v15
	v_lshlrev_b32_e32 v11, 31, v18
	v_or_b32_e32 v15, 0x33000000, v11
	v_add_lshl_u32 v13, v13, v14, 23
	v_lshrrev_b32_e32 v10, 9, v10
	v_sub_u32_e32 v13, v15, v13
	v_or_b32_e32 v11, 0.5, v11
	v_lshlrev_b32_e32 v14, 23, v14
	v_or_b32_e32 v10, v13, v10
	v_lshrrev_b32_e32 v13, 9, v16
	v_sub_u32_e32 v11, v11, v14
	v_or_b32_e32 v11, v13, v11
	s_mov_b32 s4, 0x3fc90fda
	v_mul_f32_e32 v13, 0x3fc90fda, v11
	v_fma_f32 v14, v11, s4, -v13
	v_fmac_f32_e32 v14, 0x33a22168, v11
	v_fmac_f32_e32 v14, 0x3fc90fda, v10
	v_lshrrev_b32_e32 v10, 30, v12
	v_add_f32_e32 v11, v13, v14
	v_add_u32_e32 v10, v20, v10
	s_andn2_saveexec_b64 s[4:5], s[20:21]
	s_cbranch_execnz .LBB17_81
	s_branch .LBB17_82
.LBB17_80:
	s_andn2_saveexec_b64 s[4:5], s[20:21]
	s_cbranch_execz .LBB17_82
.LBB17_81:
	s_mov_b32 s8, 0x3f22f983
	v_mul_f32_e64 v10, |v1|, s8
	v_rndne_f32_e32 v12, v10
	s_mov_b32 s8, 0xbfc90fda
	v_cvt_i32_f32_e32 v10, v12
	v_fma_f32 v11, v12, s8, |v1|
	v_fmac_f32_e32 v11, 0xb3a22168, v12
	v_fmac_f32_e32 v11, 0xa7c234c4, v12
.LBB17_82:
	s_or_b64 exec, exec, s[4:5]
	v_mul_f32_e32 v12, v2, v2
	s_mov_b32 s8, 0x41c80000
	v_div_scale_f32 v13, s[4:5], v12, v12, s8
	v_div_scale_f32 v14, vcc, s8, v12, s8
	v_mov_b32_e32 v15, 0x3a50e985
	v_mov_b32_e32 v17, 0x3da9a586
	;; [unrolled: 1-line block ×12, first 2 shown]
	v_rcp_f32_e32 v16, v13
	v_mov_b32_e32 v30, 0xc331ae61
	v_mov_b32_e32 v31, 0xc31313d7
	v_mov_b32_e32 v32, 0xc24da463
	v_fma_f32 v20, -v13, v16, 1.0
	v_fmac_f32_e32 v16, v20, v16
	v_mul_f32_e32 v20, v14, v16
	v_fma_f32 v21, -v13, v20, v14
	v_fmac_f32_e32 v20, v21, v16
	v_fma_f32 v13, -v13, v20, v14
	v_div_fmas_f32 v13, v13, v16, v20
	v_mov_b32_e32 v20, 0x3a725406
	v_mov_b32_e32 v21, 0x3daf5e2d
	;; [unrolled: 1-line block ×6, first 2 shown]
	v_xor_b32_e32 v6, v6, v1
	v_mov_b32_e32 v33, 0x3c0881c4
	v_div_fixup_f32 v12, v13, v12, s8
	v_fmac_f32_e32 v15, 0, v12
	v_fmac_f32_e32 v20, 0, v12
	;; [unrolled: 1-line block ×12, first 2 shown]
	v_fma_f32 v13, v12, v25, 1.0
	v_fma_f32 v14, v12, v16, 1.0
	v_div_scale_f32 v15, s[4:5], v13, v13, v14
	v_div_scale_f32 v20, vcc, v14, v13, v14
	v_mov_b32_e32 v17, 0x4280a2ba
	s_mov_b32 s8, 0x40a00000
	v_fmac_f32_e32 v26, 0, v12
	v_mov_b32_e32 v18, 0x44561b86
	v_div_scale_f32 v37, s[4:5], v2, v2, s8
	v_fmac_f32_e32 v17, 0, v12
	v_fmac_f32_e32 v27, v12, v26
	v_mov_b32_e32 v19, 0x4572a66e
	v_fmac_f32_e32 v18, v12, v17
	v_fmac_f32_e32 v28, v12, v27
	v_mov_b32_e32 v21, 0x45e243be
	v_rcp_f32_e32 v36, v15
	v_fmac_f32_e32 v19, v12, v18
	v_fmac_f32_e32 v29, v12, v28
	v_mov_b32_e32 v22, 0x45b955d1
	v_fma_f32 v38, -v15, v36, 1.0
	v_fmac_f32_e32 v36, v38, v36
	v_mul_f32_e32 v38, v20, v36
	v_fma_f32 v39, -v15, v38, v20
	v_fmac_f32_e32 v38, v39, v36
	v_fma_f32 v15, -v15, v38, v20
	v_div_fmas_f32 v15, v15, v36, v38
	v_fmac_f32_e32 v21, v12, v19
	v_fmac_f32_e32 v30, v12, v29
	v_mov_b32_e32 v23, 0x4500e17e
	v_fmac_f32_e32 v22, v12, v21
	v_fmac_f32_e32 v31, v12, v30
	v_mov_b32_e32 v16, 0xc0c19ac7
	v_mov_b32_e32 v24, 0x43720178
	v_fmac_f32_e32 v23, v12, v22
	v_fmac_f32_e32 v32, v12, v31
	;; [unrolled: 1-line block ×4, first 2 shown]
	v_rcp_f32_e32 v19, v37
	v_mul_f32_e32 v25, v9, v9
	v_mov_b32_e32 v17, 0xbab64f3b
	v_fmac_f32_e32 v34, 0xb94c1982, v25
	v_div_fixup_f32 v12, v15, v13, v14
	v_div_scale_f32 v14, vcc, s8, v2, s8
	v_div_scale_f32 v15, s[4:5], v24, v24, v16
	v_div_scale_f32 v18, s[4:5], v16, v24, v16
	v_fma_f32 v22, -v37, v19, 1.0
	v_fmac_f32_e32 v19, v22, v19
	v_fmac_f32_e32 v17, 0x37d75334, v25
	v_mov_b32_e32 v20, 0x3d2aabf7
	v_fma_f32 v13, v25, v34, v35
	v_fma_f32 v17, v25, v17, v20
	v_mov_b32_e32 v21, 0xbf000004
	v_mul_f32_e32 v13, v25, v13
	v_fma_f32 v17, v25, v17, v21
	v_fmac_f32_e32 v9, v9, v13
	v_mul_f32_e32 v22, v14, v19
	v_fma_f32 v23, -v37, v22, v14
	v_fmac_f32_e32 v22, v23, v19
	v_rcp_f32_e32 v23, v15
	v_fma_f32 v14, -v37, v22, v14
	v_div_fmas_f32 v14, v14, v19, v22
	s_mov_b64 vcc, s[4:5]
	v_fma_f32 v19, -v15, v23, 1.0
	v_fmac_f32_e32 v23, v19, v23
	v_mul_f32_e32 v19, v18, v23
	v_fma_f32 v22, -v15, v19, v18
	v_fmac_f32_e32 v19, v22, v23
	v_fma_f32 v15, -v15, v19, v18
	v_div_fmas_f32 v15, v15, v23, v19
	v_and_b32_e32 v18, 1, v8
	v_lshlrev_b32_e32 v8, 30, v8
	v_fma_f32 v17, v25, v17, 1.0
	v_cmp_eq_u32_e32 vcc, 0, v18
	v_and_b32_e32 v8, 0x80000000, v8
	v_cndmask_b32_e32 v9, v17, v9, vcc
	v_xor_b32_e32 v6, v6, v8
	s_movk_i32 s4, 0x1f8
	v_xor_b32_e32 v6, v6, v9
	v_mov_b32_e32 v8, 0x7fc00000
	v_cmp_class_f32_e64 vcc, v1, s4
	v_cndmask_b32_e32 v1, v8, v6, vcc
	v_div_fixup_f32 v6, v14, v2, s8
	v_mov_b32_e32 v13, 0xbab64f3b
	v_div_fixup_f32 v9, v15, v24, v16
	v_mul_f32_e32 v6, v6, v9
	v_mul_f32_e32 v9, v11, v11
	v_fmac_f32_e32 v33, 0xb94c1982, v9
	v_fmac_f32_e32 v13, 0x37d75334, v9
	;; [unrolled: 1-line block ×4, first 2 shown]
	v_mul_f32_e32 v14, v9, v35
	v_fmac_f32_e32 v21, v9, v20
	v_and_b32_e32 v13, 1, v10
	v_fmac_f32_e32 v11, v11, v14
	v_fma_f32 v9, v9, v21, 1.0
	v_cmp_eq_u32_e64 s[4:5], 0, v13
	v_lshlrev_b32_e32 v10, 30, v10
	v_cndmask_b32_e64 v9, -v11, v9, s[4:5]
	v_and_b32_e32 v10, 0x80000000, v10
	v_xor_b32_e32 v9, v10, v9
	s_mov_b32 s4, 0xf800000
	v_cndmask_b32_e32 v8, v8, v9, vcc
	v_mul_f32_e32 v9, 0x4f800000, v2
	v_cmp_gt_f32_e32 vcc, s4, v2
	v_cndmask_b32_e32 v2, v2, v9, vcc
	v_sqrt_f32_e32 v9, v2
	v_mul_f32_e32 v6, v6, v8
	v_fmac_f32_e32 v6, v12, v1
	v_mul_f32_e32 v1, 0x3f4c422a, v6
	v_add_u32_e32 v6, -1, v9
	v_fma_f32 v8, -v6, v9, v2
	v_cmp_ge_f32_e64 s[4:5], 0, v8
	v_add_u32_e32 v8, 1, v9
	v_cndmask_b32_e64 v6, v9, v6, s[4:5]
	v_fma_f32 v9, -v8, v9, v2
	v_cmp_lt_f32_e64 s[4:5], 0, v9
	v_cndmask_b32_e64 v6, v6, v8, s[4:5]
	v_mul_f32_e32 v8, 0x37800000, v6
	v_cndmask_b32_e32 v6, v6, v8, vcc
	v_mov_b32_e32 v8, 0x260
	v_cmp_class_f32_e32 vcc, v2, v8
	v_cndmask_b32_e32 v2, v6, v2, vcc
	v_div_scale_f32 v6, s[4:5], v2, v2, v1
	v_div_scale_f32 v8, vcc, v1, v2, v1
	v_rcp_f32_e32 v9, v6
	v_fma_f32 v10, -v6, v9, 1.0
	v_fmac_f32_e32 v9, v10, v9
	v_mul_f32_e32 v10, v8, v9
	v_fma_f32 v11, -v6, v10, v8
	v_fmac_f32_e32 v10, v11, v9
	v_fma_f32 v6, -v6, v10, v8
	v_div_fmas_f32 v6, v6, v9, v10
	v_div_fixup_f32 v6, v6, v2, v1
.LBB17_83:
	s_or_b64 exec, exec, s[14:15]
	s_add_u32 s4, s16, s12
	s_addc_u32 s5, s17, s13
	global_store_dwordx2 v7, v[3:4], s[4:5]
	global_store_dwordx2 v7, v[5:6], s[4:5] offset:2048
.LBB17_84:
	s_endpgm
	.section	.rodata,"a",@progbits
	.p2align	6, 0x0
	.amdhsa_kernel _ZN2at6native29vectorized_elementwise_kernelILi2EZZZNS0_12_GLOBAL__N_121bessel_y0_kernel_cudaERNS_18TensorIteratorBaseEENKUlvE_clEvENKUlvE0_clEvEUlfE_St5arrayIPcLm2EEEEviT0_T1_
		.amdhsa_group_segment_fixed_size 0
		.amdhsa_private_segment_fixed_size 0
		.amdhsa_kernarg_size 24
		.amdhsa_user_sgpr_count 6
		.amdhsa_user_sgpr_private_segment_buffer 1
		.amdhsa_user_sgpr_dispatch_ptr 0
		.amdhsa_user_sgpr_queue_ptr 0
		.amdhsa_user_sgpr_kernarg_segment_ptr 1
		.amdhsa_user_sgpr_dispatch_id 0
		.amdhsa_user_sgpr_flat_scratch_init 0
		.amdhsa_user_sgpr_private_segment_size 0
		.amdhsa_uses_dynamic_stack 0
		.amdhsa_system_sgpr_private_segment_wavefront_offset 0
		.amdhsa_system_sgpr_workgroup_id_x 1
		.amdhsa_system_sgpr_workgroup_id_y 0
		.amdhsa_system_sgpr_workgroup_id_z 0
		.amdhsa_system_sgpr_workgroup_info 0
		.amdhsa_system_vgpr_workitem_id 0
		.amdhsa_next_free_vgpr 40
		.amdhsa_next_free_sgpr 33
		.amdhsa_reserve_vcc 1
		.amdhsa_reserve_flat_scratch 0
		.amdhsa_float_round_mode_32 0
		.amdhsa_float_round_mode_16_64 0
		.amdhsa_float_denorm_mode_32 3
		.amdhsa_float_denorm_mode_16_64 3
		.amdhsa_dx10_clamp 1
		.amdhsa_ieee_mode 1
		.amdhsa_fp16_overflow 0
		.amdhsa_exception_fp_ieee_invalid_op 0
		.amdhsa_exception_fp_denorm_src 0
		.amdhsa_exception_fp_ieee_div_zero 0
		.amdhsa_exception_fp_ieee_overflow 0
		.amdhsa_exception_fp_ieee_underflow 0
		.amdhsa_exception_fp_ieee_inexact 0
		.amdhsa_exception_int_div_zero 0
	.end_amdhsa_kernel
	.section	.text._ZN2at6native29vectorized_elementwise_kernelILi2EZZZNS0_12_GLOBAL__N_121bessel_y0_kernel_cudaERNS_18TensorIteratorBaseEENKUlvE_clEvENKUlvE0_clEvEUlfE_St5arrayIPcLm2EEEEviT0_T1_,"axG",@progbits,_ZN2at6native29vectorized_elementwise_kernelILi2EZZZNS0_12_GLOBAL__N_121bessel_y0_kernel_cudaERNS_18TensorIteratorBaseEENKUlvE_clEvENKUlvE0_clEvEUlfE_St5arrayIPcLm2EEEEviT0_T1_,comdat
.Lfunc_end17:
	.size	_ZN2at6native29vectorized_elementwise_kernelILi2EZZZNS0_12_GLOBAL__N_121bessel_y0_kernel_cudaERNS_18TensorIteratorBaseEENKUlvE_clEvENKUlvE0_clEvEUlfE_St5arrayIPcLm2EEEEviT0_T1_, .Lfunc_end17-_ZN2at6native29vectorized_elementwise_kernelILi2EZZZNS0_12_GLOBAL__N_121bessel_y0_kernel_cudaERNS_18TensorIteratorBaseEENKUlvE_clEvENKUlvE0_clEvEUlfE_St5arrayIPcLm2EEEEviT0_T1_
                                        ; -- End function
	.set _ZN2at6native29vectorized_elementwise_kernelILi2EZZZNS0_12_GLOBAL__N_121bessel_y0_kernel_cudaERNS_18TensorIteratorBaseEENKUlvE_clEvENKUlvE0_clEvEUlfE_St5arrayIPcLm2EEEEviT0_T1_.num_vgpr, max(40, .L_ZN2at6native25elementwise_kernel_helperILb0EZZZNS0_12_GLOBAL__N_121bessel_y0_kernel_cudaERNS_18TensorIteratorBaseEENKUlvE_clEvENKUlvE0_clEvEUlfE_NS0_6memory8policies11unroll_baseILi256ESt5arrayIPcLm2EE23TrivialOffsetCalculatorILi1EjESF_NS8_15LoadWithoutCastENS8_16StoreWithoutCastELi4ELi1EEEEEvT0_T1_.num_vgpr)
	.set _ZN2at6native29vectorized_elementwise_kernelILi2EZZZNS0_12_GLOBAL__N_121bessel_y0_kernel_cudaERNS_18TensorIteratorBaseEENKUlvE_clEvENKUlvE0_clEvEUlfE_St5arrayIPcLm2EEEEviT0_T1_.num_agpr, max(0, .L_ZN2at6native25elementwise_kernel_helperILb0EZZZNS0_12_GLOBAL__N_121bessel_y0_kernel_cudaERNS_18TensorIteratorBaseEENKUlvE_clEvENKUlvE0_clEvEUlfE_NS0_6memory8policies11unroll_baseILi256ESt5arrayIPcLm2EE23TrivialOffsetCalculatorILi1EjESF_NS8_15LoadWithoutCastENS8_16StoreWithoutCastELi4ELi1EEEEEvT0_T1_.num_agpr)
	.set _ZN2at6native29vectorized_elementwise_kernelILi2EZZZNS0_12_GLOBAL__N_121bessel_y0_kernel_cudaERNS_18TensorIteratorBaseEENKUlvE_clEvENKUlvE0_clEvEUlfE_St5arrayIPcLm2EEEEviT0_T1_.numbered_sgpr, max(33, .L_ZN2at6native25elementwise_kernel_helperILb0EZZZNS0_12_GLOBAL__N_121bessel_y0_kernel_cudaERNS_18TensorIteratorBaseEENKUlvE_clEvENKUlvE0_clEvEUlfE_NS0_6memory8policies11unroll_baseILi256ESt5arrayIPcLm2EE23TrivialOffsetCalculatorILi1EjESF_NS8_15LoadWithoutCastENS8_16StoreWithoutCastELi4ELi1EEEEEvT0_T1_.numbered_sgpr)
	.set _ZN2at6native29vectorized_elementwise_kernelILi2EZZZNS0_12_GLOBAL__N_121bessel_y0_kernel_cudaERNS_18TensorIteratorBaseEENKUlvE_clEvENKUlvE0_clEvEUlfE_St5arrayIPcLm2EEEEviT0_T1_.num_named_barrier, max(0, .L_ZN2at6native25elementwise_kernel_helperILb0EZZZNS0_12_GLOBAL__N_121bessel_y0_kernel_cudaERNS_18TensorIteratorBaseEENKUlvE_clEvENKUlvE0_clEvEUlfE_NS0_6memory8policies11unroll_baseILi256ESt5arrayIPcLm2EE23TrivialOffsetCalculatorILi1EjESF_NS8_15LoadWithoutCastENS8_16StoreWithoutCastELi4ELi1EEEEEvT0_T1_.num_named_barrier)
	.set _ZN2at6native29vectorized_elementwise_kernelILi2EZZZNS0_12_GLOBAL__N_121bessel_y0_kernel_cudaERNS_18TensorIteratorBaseEENKUlvE_clEvENKUlvE0_clEvEUlfE_St5arrayIPcLm2EEEEviT0_T1_.private_seg_size, 0+max(.L_ZN2at6native25elementwise_kernel_helperILb0EZZZNS0_12_GLOBAL__N_121bessel_y0_kernel_cudaERNS_18TensorIteratorBaseEENKUlvE_clEvENKUlvE0_clEvEUlfE_NS0_6memory8policies11unroll_baseILi256ESt5arrayIPcLm2EE23TrivialOffsetCalculatorILi1EjESF_NS8_15LoadWithoutCastENS8_16StoreWithoutCastELi4ELi1EEEEEvT0_T1_.private_seg_size)
	.set _ZN2at6native29vectorized_elementwise_kernelILi2EZZZNS0_12_GLOBAL__N_121bessel_y0_kernel_cudaERNS_18TensorIteratorBaseEENKUlvE_clEvENKUlvE0_clEvEUlfE_St5arrayIPcLm2EEEEviT0_T1_.uses_vcc, or(1, .L_ZN2at6native25elementwise_kernel_helperILb0EZZZNS0_12_GLOBAL__N_121bessel_y0_kernel_cudaERNS_18TensorIteratorBaseEENKUlvE_clEvENKUlvE0_clEvEUlfE_NS0_6memory8policies11unroll_baseILi256ESt5arrayIPcLm2EE23TrivialOffsetCalculatorILi1EjESF_NS8_15LoadWithoutCastENS8_16StoreWithoutCastELi4ELi1EEEEEvT0_T1_.uses_vcc)
	.set _ZN2at6native29vectorized_elementwise_kernelILi2EZZZNS0_12_GLOBAL__N_121bessel_y0_kernel_cudaERNS_18TensorIteratorBaseEENKUlvE_clEvENKUlvE0_clEvEUlfE_St5arrayIPcLm2EEEEviT0_T1_.uses_flat_scratch, or(0, .L_ZN2at6native25elementwise_kernel_helperILb0EZZZNS0_12_GLOBAL__N_121bessel_y0_kernel_cudaERNS_18TensorIteratorBaseEENKUlvE_clEvENKUlvE0_clEvEUlfE_NS0_6memory8policies11unroll_baseILi256ESt5arrayIPcLm2EE23TrivialOffsetCalculatorILi1EjESF_NS8_15LoadWithoutCastENS8_16StoreWithoutCastELi4ELi1EEEEEvT0_T1_.uses_flat_scratch)
	.set _ZN2at6native29vectorized_elementwise_kernelILi2EZZZNS0_12_GLOBAL__N_121bessel_y0_kernel_cudaERNS_18TensorIteratorBaseEENKUlvE_clEvENKUlvE0_clEvEUlfE_St5arrayIPcLm2EEEEviT0_T1_.has_dyn_sized_stack, or(0, .L_ZN2at6native25elementwise_kernel_helperILb0EZZZNS0_12_GLOBAL__N_121bessel_y0_kernel_cudaERNS_18TensorIteratorBaseEENKUlvE_clEvENKUlvE0_clEvEUlfE_NS0_6memory8policies11unroll_baseILi256ESt5arrayIPcLm2EE23TrivialOffsetCalculatorILi1EjESF_NS8_15LoadWithoutCastENS8_16StoreWithoutCastELi4ELi1EEEEEvT0_T1_.has_dyn_sized_stack)
	.set _ZN2at6native29vectorized_elementwise_kernelILi2EZZZNS0_12_GLOBAL__N_121bessel_y0_kernel_cudaERNS_18TensorIteratorBaseEENKUlvE_clEvENKUlvE0_clEvEUlfE_St5arrayIPcLm2EEEEviT0_T1_.has_recursion, or(0, .L_ZN2at6native25elementwise_kernel_helperILb0EZZZNS0_12_GLOBAL__N_121bessel_y0_kernel_cudaERNS_18TensorIteratorBaseEENKUlvE_clEvENKUlvE0_clEvEUlfE_NS0_6memory8policies11unroll_baseILi256ESt5arrayIPcLm2EE23TrivialOffsetCalculatorILi1EjESF_NS8_15LoadWithoutCastENS8_16StoreWithoutCastELi4ELi1EEEEEvT0_T1_.has_recursion)
	.set _ZN2at6native29vectorized_elementwise_kernelILi2EZZZNS0_12_GLOBAL__N_121bessel_y0_kernel_cudaERNS_18TensorIteratorBaseEENKUlvE_clEvENKUlvE0_clEvEUlfE_St5arrayIPcLm2EEEEviT0_T1_.has_indirect_call, or(0, .L_ZN2at6native25elementwise_kernel_helperILb0EZZZNS0_12_GLOBAL__N_121bessel_y0_kernel_cudaERNS_18TensorIteratorBaseEENKUlvE_clEvENKUlvE0_clEvEUlfE_NS0_6memory8policies11unroll_baseILi256ESt5arrayIPcLm2EE23TrivialOffsetCalculatorILi1EjESF_NS8_15LoadWithoutCastENS8_16StoreWithoutCastELi4ELi1EEEEEvT0_T1_.has_indirect_call)
	.section	.AMDGPU.csdata,"",@progbits
; Kernel info:
; codeLenInByte = 13200
; TotalNumSgprs: 37
; NumVgprs: 40
; ScratchSize: 0
; MemoryBound: 0
; FloatMode: 240
; IeeeMode: 1
; LDSByteSize: 0 bytes/workgroup (compile time only)
; SGPRBlocks: 4
; VGPRBlocks: 9
; NumSGPRsForWavesPerEU: 37
; NumVGPRsForWavesPerEU: 40
; Occupancy: 6
; WaveLimiterHint : 1
; COMPUTE_PGM_RSRC2:SCRATCH_EN: 0
; COMPUTE_PGM_RSRC2:USER_SGPR: 6
; COMPUTE_PGM_RSRC2:TRAP_HANDLER: 0
; COMPUTE_PGM_RSRC2:TGID_X_EN: 1
; COMPUTE_PGM_RSRC2:TGID_Y_EN: 0
; COMPUTE_PGM_RSRC2:TGID_Z_EN: 0
; COMPUTE_PGM_RSRC2:TIDIG_COMP_CNT: 0
	.section	.text._ZN2at6native27unrolled_elementwise_kernelIZZZNS0_12_GLOBAL__N_121bessel_y0_kernel_cudaERNS_18TensorIteratorBaseEENKUlvE_clEvENKUlvE0_clEvEUlfE_St5arrayIPcLm2EELi4E23TrivialOffsetCalculatorILi1EjESC_NS0_6memory15LoadWithoutCastENSD_16StoreWithoutCastEEEviT_T0_T2_T3_T4_T5_,"axG",@progbits,_ZN2at6native27unrolled_elementwise_kernelIZZZNS0_12_GLOBAL__N_121bessel_y0_kernel_cudaERNS_18TensorIteratorBaseEENKUlvE_clEvENKUlvE0_clEvEUlfE_St5arrayIPcLm2EELi4E23TrivialOffsetCalculatorILi1EjESC_NS0_6memory15LoadWithoutCastENSD_16StoreWithoutCastEEEviT_T0_T2_T3_T4_T5_,comdat
	.globl	_ZN2at6native27unrolled_elementwise_kernelIZZZNS0_12_GLOBAL__N_121bessel_y0_kernel_cudaERNS_18TensorIteratorBaseEENKUlvE_clEvENKUlvE0_clEvEUlfE_St5arrayIPcLm2EELi4E23TrivialOffsetCalculatorILi1EjESC_NS0_6memory15LoadWithoutCastENSD_16StoreWithoutCastEEEviT_T0_T2_T3_T4_T5_ ; -- Begin function _ZN2at6native27unrolled_elementwise_kernelIZZZNS0_12_GLOBAL__N_121bessel_y0_kernel_cudaERNS_18TensorIteratorBaseEENKUlvE_clEvENKUlvE0_clEvEUlfE_St5arrayIPcLm2EELi4E23TrivialOffsetCalculatorILi1EjESC_NS0_6memory15LoadWithoutCastENSD_16StoreWithoutCastEEEviT_T0_T2_T3_T4_T5_
	.p2align	8
	.type	_ZN2at6native27unrolled_elementwise_kernelIZZZNS0_12_GLOBAL__N_121bessel_y0_kernel_cudaERNS_18TensorIteratorBaseEENKUlvE_clEvENKUlvE0_clEvEUlfE_St5arrayIPcLm2EELi4E23TrivialOffsetCalculatorILi1EjESC_NS0_6memory15LoadWithoutCastENSD_16StoreWithoutCastEEEviT_T0_T2_T3_T4_T5_,@function
_ZN2at6native27unrolled_elementwise_kernelIZZZNS0_12_GLOBAL__N_121bessel_y0_kernel_cudaERNS_18TensorIteratorBaseEENKUlvE_clEvENKUlvE0_clEvEUlfE_St5arrayIPcLm2EELi4E23TrivialOffsetCalculatorILi1EjESC_NS0_6memory15LoadWithoutCastENSD_16StoreWithoutCastEEEviT_T0_T2_T3_T4_T5_: ; @_ZN2at6native27unrolled_elementwise_kernelIZZZNS0_12_GLOBAL__N_121bessel_y0_kernel_cudaERNS_18TensorIteratorBaseEENKUlvE_clEvENKUlvE0_clEvEUlfE_St5arrayIPcLm2EELi4E23TrivialOffsetCalculatorILi1EjESC_NS0_6memory15LoadWithoutCastENSD_16StoreWithoutCastEEEviT_T0_T2_T3_T4_T5_
; %bb.0:
	s_add_u32 s0, s0, s7
	s_load_dword s7, s[4:5], 0x0
	s_load_dwordx4 s[8:11], s[4:5], 0x8
	s_addc_u32 s1, s1, 0
	s_lshl_b32 s4, s6, 10
	s_mov_b32 s12, s6
	s_waitcnt lgkmcnt(0)
	s_sub_i32 s7, s7, s4
	s_getpc_b64 s[4:5]
	s_add_u32 s4, s4, _ZN2at6native25elementwise_kernel_helperILb0EZZZNS0_12_GLOBAL__N_121bessel_y0_kernel_cudaERNS_18TensorIteratorBaseEENKUlvE_clEvENKUlvE0_clEvEUlfE_NS0_6memory8policies11unroll_baseILi256ESt5arrayIPcLm2EE23TrivialOffsetCalculatorILi1EjESF_NS8_15LoadWithoutCastENS8_16StoreWithoutCastELi4ELi1EEEEEvT0_T1_@rel32@lo+4
	s_addc_u32 s5, s5, _ZN2at6native25elementwise_kernel_helperILb0EZZZNS0_12_GLOBAL__N_121bessel_y0_kernel_cudaERNS_18TensorIteratorBaseEENKUlvE_clEvENKUlvE0_clEvEUlfE_NS0_6memory8policies11unroll_baseILi256ESt5arrayIPcLm2EE23TrivialOffsetCalculatorILi1EjESF_NS8_15LoadWithoutCastENS8_16StoreWithoutCastELi4ELi1EEEEEvT0_T1_@rel32@hi+12
	v_mov_b32_e32 v31, v0
	v_mov_b32_e32 v0, s8
	;; [unrolled: 1-line block ×6, first 2 shown]
	s_mov_b32 s32, 0
	s_swappc_b64 s[30:31], s[4:5]
	s_endpgm
	.section	.rodata,"a",@progbits
	.p2align	6, 0x0
	.amdhsa_kernel _ZN2at6native27unrolled_elementwise_kernelIZZZNS0_12_GLOBAL__N_121bessel_y0_kernel_cudaERNS_18TensorIteratorBaseEENKUlvE_clEvENKUlvE0_clEvEUlfE_St5arrayIPcLm2EELi4E23TrivialOffsetCalculatorILi1EjESC_NS0_6memory15LoadWithoutCastENSD_16StoreWithoutCastEEEviT_T0_T2_T3_T4_T5_
		.amdhsa_group_segment_fixed_size 0
		.amdhsa_private_segment_fixed_size 0
		.amdhsa_kernarg_size 28
		.amdhsa_user_sgpr_count 6
		.amdhsa_user_sgpr_private_segment_buffer 1
		.amdhsa_user_sgpr_dispatch_ptr 0
		.amdhsa_user_sgpr_queue_ptr 0
		.amdhsa_user_sgpr_kernarg_segment_ptr 1
		.amdhsa_user_sgpr_dispatch_id 0
		.amdhsa_user_sgpr_flat_scratch_init 0
		.amdhsa_user_sgpr_private_segment_size 0
		.amdhsa_uses_dynamic_stack 0
		.amdhsa_system_sgpr_private_segment_wavefront_offset 0
		.amdhsa_system_sgpr_workgroup_id_x 1
		.amdhsa_system_sgpr_workgroup_id_y 0
		.amdhsa_system_sgpr_workgroup_id_z 0
		.amdhsa_system_sgpr_workgroup_info 0
		.amdhsa_system_vgpr_workitem_id 0
		.amdhsa_next_free_vgpr 32
		.amdhsa_next_free_sgpr 33
		.amdhsa_reserve_vcc 1
		.amdhsa_reserve_flat_scratch 0
		.amdhsa_float_round_mode_32 0
		.amdhsa_float_round_mode_16_64 0
		.amdhsa_float_denorm_mode_32 3
		.amdhsa_float_denorm_mode_16_64 3
		.amdhsa_dx10_clamp 1
		.amdhsa_ieee_mode 1
		.amdhsa_fp16_overflow 0
		.amdhsa_exception_fp_ieee_invalid_op 0
		.amdhsa_exception_fp_denorm_src 0
		.amdhsa_exception_fp_ieee_div_zero 0
		.amdhsa_exception_fp_ieee_overflow 0
		.amdhsa_exception_fp_ieee_underflow 0
		.amdhsa_exception_fp_ieee_inexact 0
		.amdhsa_exception_int_div_zero 0
	.end_amdhsa_kernel
	.section	.text._ZN2at6native27unrolled_elementwise_kernelIZZZNS0_12_GLOBAL__N_121bessel_y0_kernel_cudaERNS_18TensorIteratorBaseEENKUlvE_clEvENKUlvE0_clEvEUlfE_St5arrayIPcLm2EELi4E23TrivialOffsetCalculatorILi1EjESC_NS0_6memory15LoadWithoutCastENSD_16StoreWithoutCastEEEviT_T0_T2_T3_T4_T5_,"axG",@progbits,_ZN2at6native27unrolled_elementwise_kernelIZZZNS0_12_GLOBAL__N_121bessel_y0_kernel_cudaERNS_18TensorIteratorBaseEENKUlvE_clEvENKUlvE0_clEvEUlfE_St5arrayIPcLm2EELi4E23TrivialOffsetCalculatorILi1EjESC_NS0_6memory15LoadWithoutCastENSD_16StoreWithoutCastEEEviT_T0_T2_T3_T4_T5_,comdat
.Lfunc_end18:
	.size	_ZN2at6native27unrolled_elementwise_kernelIZZZNS0_12_GLOBAL__N_121bessel_y0_kernel_cudaERNS_18TensorIteratorBaseEENKUlvE_clEvENKUlvE0_clEvEUlfE_St5arrayIPcLm2EELi4E23TrivialOffsetCalculatorILi1EjESC_NS0_6memory15LoadWithoutCastENSD_16StoreWithoutCastEEEviT_T0_T2_T3_T4_T5_, .Lfunc_end18-_ZN2at6native27unrolled_elementwise_kernelIZZZNS0_12_GLOBAL__N_121bessel_y0_kernel_cudaERNS_18TensorIteratorBaseEENKUlvE_clEvENKUlvE0_clEvEUlfE_St5arrayIPcLm2EELi4E23TrivialOffsetCalculatorILi1EjESC_NS0_6memory15LoadWithoutCastENSD_16StoreWithoutCastEEEviT_T0_T2_T3_T4_T5_
                                        ; -- End function
	.set _ZN2at6native27unrolled_elementwise_kernelIZZZNS0_12_GLOBAL__N_121bessel_y0_kernel_cudaERNS_18TensorIteratorBaseEENKUlvE_clEvENKUlvE0_clEvEUlfE_St5arrayIPcLm2EELi4E23TrivialOffsetCalculatorILi1EjESC_NS0_6memory15LoadWithoutCastENSD_16StoreWithoutCastEEEviT_T0_T2_T3_T4_T5_.num_vgpr, max(32, .L_ZN2at6native25elementwise_kernel_helperILb0EZZZNS0_12_GLOBAL__N_121bessel_y0_kernel_cudaERNS_18TensorIteratorBaseEENKUlvE_clEvENKUlvE0_clEvEUlfE_NS0_6memory8policies11unroll_baseILi256ESt5arrayIPcLm2EE23TrivialOffsetCalculatorILi1EjESF_NS8_15LoadWithoutCastENS8_16StoreWithoutCastELi4ELi1EEEEEvT0_T1_.num_vgpr)
	.set _ZN2at6native27unrolled_elementwise_kernelIZZZNS0_12_GLOBAL__N_121bessel_y0_kernel_cudaERNS_18TensorIteratorBaseEENKUlvE_clEvENKUlvE0_clEvEUlfE_St5arrayIPcLm2EELi4E23TrivialOffsetCalculatorILi1EjESC_NS0_6memory15LoadWithoutCastENSD_16StoreWithoutCastEEEviT_T0_T2_T3_T4_T5_.num_agpr, max(0, .L_ZN2at6native25elementwise_kernel_helperILb0EZZZNS0_12_GLOBAL__N_121bessel_y0_kernel_cudaERNS_18TensorIteratorBaseEENKUlvE_clEvENKUlvE0_clEvEUlfE_NS0_6memory8policies11unroll_baseILi256ESt5arrayIPcLm2EE23TrivialOffsetCalculatorILi1EjESF_NS8_15LoadWithoutCastENS8_16StoreWithoutCastELi4ELi1EEEEEvT0_T1_.num_agpr)
	.set _ZN2at6native27unrolled_elementwise_kernelIZZZNS0_12_GLOBAL__N_121bessel_y0_kernel_cudaERNS_18TensorIteratorBaseEENKUlvE_clEvENKUlvE0_clEvEUlfE_St5arrayIPcLm2EELi4E23TrivialOffsetCalculatorILi1EjESC_NS0_6memory15LoadWithoutCastENSD_16StoreWithoutCastEEEviT_T0_T2_T3_T4_T5_.numbered_sgpr, max(33, .L_ZN2at6native25elementwise_kernel_helperILb0EZZZNS0_12_GLOBAL__N_121bessel_y0_kernel_cudaERNS_18TensorIteratorBaseEENKUlvE_clEvENKUlvE0_clEvEUlfE_NS0_6memory8policies11unroll_baseILi256ESt5arrayIPcLm2EE23TrivialOffsetCalculatorILi1EjESF_NS8_15LoadWithoutCastENS8_16StoreWithoutCastELi4ELi1EEEEEvT0_T1_.numbered_sgpr)
	.set _ZN2at6native27unrolled_elementwise_kernelIZZZNS0_12_GLOBAL__N_121bessel_y0_kernel_cudaERNS_18TensorIteratorBaseEENKUlvE_clEvENKUlvE0_clEvEUlfE_St5arrayIPcLm2EELi4E23TrivialOffsetCalculatorILi1EjESC_NS0_6memory15LoadWithoutCastENSD_16StoreWithoutCastEEEviT_T0_T2_T3_T4_T5_.num_named_barrier, max(0, .L_ZN2at6native25elementwise_kernel_helperILb0EZZZNS0_12_GLOBAL__N_121bessel_y0_kernel_cudaERNS_18TensorIteratorBaseEENKUlvE_clEvENKUlvE0_clEvEUlfE_NS0_6memory8policies11unroll_baseILi256ESt5arrayIPcLm2EE23TrivialOffsetCalculatorILi1EjESF_NS8_15LoadWithoutCastENS8_16StoreWithoutCastELi4ELi1EEEEEvT0_T1_.num_named_barrier)
	.set _ZN2at6native27unrolled_elementwise_kernelIZZZNS0_12_GLOBAL__N_121bessel_y0_kernel_cudaERNS_18TensorIteratorBaseEENKUlvE_clEvENKUlvE0_clEvEUlfE_St5arrayIPcLm2EELi4E23TrivialOffsetCalculatorILi1EjESC_NS0_6memory15LoadWithoutCastENSD_16StoreWithoutCastEEEviT_T0_T2_T3_T4_T5_.private_seg_size, 0+max(.L_ZN2at6native25elementwise_kernel_helperILb0EZZZNS0_12_GLOBAL__N_121bessel_y0_kernel_cudaERNS_18TensorIteratorBaseEENKUlvE_clEvENKUlvE0_clEvEUlfE_NS0_6memory8policies11unroll_baseILi256ESt5arrayIPcLm2EE23TrivialOffsetCalculatorILi1EjESF_NS8_15LoadWithoutCastENS8_16StoreWithoutCastELi4ELi1EEEEEvT0_T1_.private_seg_size)
	.set _ZN2at6native27unrolled_elementwise_kernelIZZZNS0_12_GLOBAL__N_121bessel_y0_kernel_cudaERNS_18TensorIteratorBaseEENKUlvE_clEvENKUlvE0_clEvEUlfE_St5arrayIPcLm2EELi4E23TrivialOffsetCalculatorILi1EjESC_NS0_6memory15LoadWithoutCastENSD_16StoreWithoutCastEEEviT_T0_T2_T3_T4_T5_.uses_vcc, or(1, .L_ZN2at6native25elementwise_kernel_helperILb0EZZZNS0_12_GLOBAL__N_121bessel_y0_kernel_cudaERNS_18TensorIteratorBaseEENKUlvE_clEvENKUlvE0_clEvEUlfE_NS0_6memory8policies11unroll_baseILi256ESt5arrayIPcLm2EE23TrivialOffsetCalculatorILi1EjESF_NS8_15LoadWithoutCastENS8_16StoreWithoutCastELi4ELi1EEEEEvT0_T1_.uses_vcc)
	.set _ZN2at6native27unrolled_elementwise_kernelIZZZNS0_12_GLOBAL__N_121bessel_y0_kernel_cudaERNS_18TensorIteratorBaseEENKUlvE_clEvENKUlvE0_clEvEUlfE_St5arrayIPcLm2EELi4E23TrivialOffsetCalculatorILi1EjESC_NS0_6memory15LoadWithoutCastENSD_16StoreWithoutCastEEEviT_T0_T2_T3_T4_T5_.uses_flat_scratch, or(0, .L_ZN2at6native25elementwise_kernel_helperILb0EZZZNS0_12_GLOBAL__N_121bessel_y0_kernel_cudaERNS_18TensorIteratorBaseEENKUlvE_clEvENKUlvE0_clEvEUlfE_NS0_6memory8policies11unroll_baseILi256ESt5arrayIPcLm2EE23TrivialOffsetCalculatorILi1EjESF_NS8_15LoadWithoutCastENS8_16StoreWithoutCastELi4ELi1EEEEEvT0_T1_.uses_flat_scratch)
	.set _ZN2at6native27unrolled_elementwise_kernelIZZZNS0_12_GLOBAL__N_121bessel_y0_kernel_cudaERNS_18TensorIteratorBaseEENKUlvE_clEvENKUlvE0_clEvEUlfE_St5arrayIPcLm2EELi4E23TrivialOffsetCalculatorILi1EjESC_NS0_6memory15LoadWithoutCastENSD_16StoreWithoutCastEEEviT_T0_T2_T3_T4_T5_.has_dyn_sized_stack, or(0, .L_ZN2at6native25elementwise_kernel_helperILb0EZZZNS0_12_GLOBAL__N_121bessel_y0_kernel_cudaERNS_18TensorIteratorBaseEENKUlvE_clEvENKUlvE0_clEvEUlfE_NS0_6memory8policies11unroll_baseILi256ESt5arrayIPcLm2EE23TrivialOffsetCalculatorILi1EjESF_NS8_15LoadWithoutCastENS8_16StoreWithoutCastELi4ELi1EEEEEvT0_T1_.has_dyn_sized_stack)
	.set _ZN2at6native27unrolled_elementwise_kernelIZZZNS0_12_GLOBAL__N_121bessel_y0_kernel_cudaERNS_18TensorIteratorBaseEENKUlvE_clEvENKUlvE0_clEvEUlfE_St5arrayIPcLm2EELi4E23TrivialOffsetCalculatorILi1EjESC_NS0_6memory15LoadWithoutCastENSD_16StoreWithoutCastEEEviT_T0_T2_T3_T4_T5_.has_recursion, or(0, .L_ZN2at6native25elementwise_kernel_helperILb0EZZZNS0_12_GLOBAL__N_121bessel_y0_kernel_cudaERNS_18TensorIteratorBaseEENKUlvE_clEvENKUlvE0_clEvEUlfE_NS0_6memory8policies11unroll_baseILi256ESt5arrayIPcLm2EE23TrivialOffsetCalculatorILi1EjESF_NS8_15LoadWithoutCastENS8_16StoreWithoutCastELi4ELi1EEEEEvT0_T1_.has_recursion)
	.set _ZN2at6native27unrolled_elementwise_kernelIZZZNS0_12_GLOBAL__N_121bessel_y0_kernel_cudaERNS_18TensorIteratorBaseEENKUlvE_clEvENKUlvE0_clEvEUlfE_St5arrayIPcLm2EELi4E23TrivialOffsetCalculatorILi1EjESC_NS0_6memory15LoadWithoutCastENSD_16StoreWithoutCastEEEviT_T0_T2_T3_T4_T5_.has_indirect_call, or(0, .L_ZN2at6native25elementwise_kernel_helperILb0EZZZNS0_12_GLOBAL__N_121bessel_y0_kernel_cudaERNS_18TensorIteratorBaseEENKUlvE_clEvENKUlvE0_clEvEUlfE_NS0_6memory8policies11unroll_baseILi256ESt5arrayIPcLm2EE23TrivialOffsetCalculatorILi1EjESF_NS8_15LoadWithoutCastENS8_16StoreWithoutCastELi4ELi1EEEEEvT0_T1_.has_indirect_call)
	.section	.AMDGPU.csdata,"",@progbits
; Kernel info:
; codeLenInByte = 96
; TotalNumSgprs: 37
; NumVgprs: 32
; ScratchSize: 0
; MemoryBound: 0
; FloatMode: 240
; IeeeMode: 1
; LDSByteSize: 0 bytes/workgroup (compile time only)
; SGPRBlocks: 4
; VGPRBlocks: 7
; NumSGPRsForWavesPerEU: 37
; NumVGPRsForWavesPerEU: 32
; Occupancy: 8
; WaveLimiterHint : 0
; COMPUTE_PGM_RSRC2:SCRATCH_EN: 0
; COMPUTE_PGM_RSRC2:USER_SGPR: 6
; COMPUTE_PGM_RSRC2:TRAP_HANDLER: 0
; COMPUTE_PGM_RSRC2:TGID_X_EN: 1
; COMPUTE_PGM_RSRC2:TGID_Y_EN: 0
; COMPUTE_PGM_RSRC2:TGID_Z_EN: 0
; COMPUTE_PGM_RSRC2:TIDIG_COMP_CNT: 0
	.section	.text._ZN2at6native32elementwise_kernel_manual_unrollILi128ELi4EZNS0_22gpu_kernel_impl_nocastIZZZNS0_12_GLOBAL__N_121bessel_y0_kernel_cudaERNS_18TensorIteratorBaseEENKUlvE_clEvENKUlvE0_clEvEUlfE_EEvS5_RKT_EUlibE_EEviT1_,"axG",@progbits,_ZN2at6native32elementwise_kernel_manual_unrollILi128ELi4EZNS0_22gpu_kernel_impl_nocastIZZZNS0_12_GLOBAL__N_121bessel_y0_kernel_cudaERNS_18TensorIteratorBaseEENKUlvE_clEvENKUlvE0_clEvEUlfE_EEvS5_RKT_EUlibE_EEviT1_,comdat
	.globl	_ZN2at6native32elementwise_kernel_manual_unrollILi128ELi4EZNS0_22gpu_kernel_impl_nocastIZZZNS0_12_GLOBAL__N_121bessel_y0_kernel_cudaERNS_18TensorIteratorBaseEENKUlvE_clEvENKUlvE0_clEvEUlfE_EEvS5_RKT_EUlibE_EEviT1_ ; -- Begin function _ZN2at6native32elementwise_kernel_manual_unrollILi128ELi4EZNS0_22gpu_kernel_impl_nocastIZZZNS0_12_GLOBAL__N_121bessel_y0_kernel_cudaERNS_18TensorIteratorBaseEENKUlvE_clEvENKUlvE0_clEvEUlfE_EEvS5_RKT_EUlibE_EEviT1_
	.p2align	8
	.type	_ZN2at6native32elementwise_kernel_manual_unrollILi128ELi4EZNS0_22gpu_kernel_impl_nocastIZZZNS0_12_GLOBAL__N_121bessel_y0_kernel_cudaERNS_18TensorIteratorBaseEENKUlvE_clEvENKUlvE0_clEvEUlfE_EEvS5_RKT_EUlibE_EEviT1_,@function
_ZN2at6native32elementwise_kernel_manual_unrollILi128ELi4EZNS0_22gpu_kernel_impl_nocastIZZZNS0_12_GLOBAL__N_121bessel_y0_kernel_cudaERNS_18TensorIteratorBaseEENKUlvE_clEvENKUlvE0_clEvEUlfE_EEvS5_RKT_EUlibE_EEviT1_: ; @_ZN2at6native32elementwise_kernel_manual_unrollILi128ELi4EZNS0_22gpu_kernel_impl_nocastIZZZNS0_12_GLOBAL__N_121bessel_y0_kernel_cudaERNS_18TensorIteratorBaseEENKUlvE_clEvENKUlvE0_clEvEUlfE_EEvS5_RKT_EUlibE_EEviT1_
; %bb.0:
	s_load_dword s55, s[4:5], 0x0
	s_load_dword s33, s[4:5], 0x8
	s_add_u32 s34, s4, 8
	s_addc_u32 s35, s5, 0
	v_lshl_or_b32 v4, s6, 9, v0
	v_or_b32_e32 v13, 0x180, v4
	s_waitcnt lgkmcnt(0)
	s_add_i32 s54, s33, -1
	s_cmp_gt_u32 s54, 1
	v_cmp_le_i32_e32 vcc, s55, v13
	s_cselect_b64 s[36:37], -1, 0
	s_and_saveexec_b64 s[0:1], vcc
	s_xor_b64 s[38:39], exec, s[0:1]
	s_cbranch_execz .LBB19_7
; %bb.1:
	s_load_dwordx4 s[24:27], s[34:35], 0x4
	s_load_dwordx2 s[40:41], s[34:35], 0x14
	s_load_dwordx4 s[20:23], s[34:35], 0xc4
	s_load_dwordx4 s[16:19], s[34:35], 0x148
	s_cmp_lg_u32 s33, 0
	s_cselect_b64 s[46:47], -1, 0
	s_add_u32 s44, s34, 0xc4
	s_addc_u32 s45, s35, 0
	s_min_u32 s56, s54, 15
	s_cmp_gt_u32 s33, 1
	s_cselect_b64 s[42:43], -1, 0
	v_cmp_gt_i32_e32 vcc, s55, v4
	s_and_saveexec_b64 s[48:49], vcc
	s_cbranch_execz .LBB19_14
; %bb.2:
	s_andn2_b64 vcc, exec, s[36:37]
	s_cbranch_vccnz .LBB19_21
; %bb.3:
	s_andn2_b64 vcc, exec, s[46:47]
	s_cbranch_vccnz .LBB19_153
; %bb.4:
	s_add_i32 s58, s56, 1
	s_cmp_eq_u32 s54, 2
	s_cbranch_scc1 .LBB19_155
; %bb.5:
	s_and_b32 s57, s58, 28
	v_mov_b32_e32 v2, 0
	s_mov_b32 s59, 0
	s_mov_b64 s[50:51], s[34:35]
	s_mov_b64 s[52:53], s[44:45]
	v_mov_b32_e32 v0, 0
	v_mov_b32_e32 v1, v4
.LBB19_6:                               ; =>This Inner Loop Header: Depth=1
	s_load_dwordx8 s[8:15], s[50:51], 0x4
	s_load_dwordx4 s[28:31], s[50:51], 0x24
	s_load_dwordx8 s[0:7], s[52:53], 0x0
	s_add_u32 s50, s50, 48
	s_addc_u32 s51, s51, 0
	s_waitcnt lgkmcnt(0)
	v_mul_hi_u32 v3, s9, v1
	s_add_i32 s59, s59, 4
	s_add_u32 s52, s52, 32
	s_addc_u32 s53, s53, 0
	v_add_u32_e32 v3, v1, v3
	v_lshrrev_b32_e32 v3, s10, v3
	v_mul_lo_u32 v5, v3, s8
	v_mul_hi_u32 v6, s12, v3
	s_cmp_lg_u32 s57, s59
	v_sub_u32_e32 v1, v1, v5
	v_add_u32_e32 v5, v3, v6
	v_mul_lo_u32 v6, v1, s0
	v_mul_lo_u32 v7, v1, s1
	v_lshrrev_b32_e32 v1, s13, v5
	v_mul_lo_u32 v5, v1, s11
	v_mul_hi_u32 v8, s15, v1
	v_sub_u32_e32 v3, v3, v5
	v_add_u32_e32 v5, v1, v8
	v_lshrrev_b32_e32 v5, s28, v5
	v_mul_hi_u32 v9, s30, v5
	v_mul_lo_u32 v10, v5, s14
	v_mul_lo_u32 v8, v3, s2
	;; [unrolled: 1-line block ×3, first 2 shown]
	v_sub_u32_e32 v10, v1, v10
	v_add_u32_e32 v1, v5, v9
	v_lshrrev_b32_e32 v1, s31, v1
	v_mul_lo_u32 v9, v1, s29
	v_mul_lo_u32 v11, v10, s4
	;; [unrolled: 1-line block ×3, first 2 shown]
	v_add3_u32 v0, v6, v0, v8
	v_sub_u32_e32 v5, v5, v9
	v_mul_lo_u32 v9, v5, s6
	v_mul_lo_u32 v5, v5, s7
	v_add3_u32 v2, v7, v2, v3
	v_add3_u32 v0, v11, v0, v9
	;; [unrolled: 1-line block ×3, first 2 shown]
	s_cbranch_scc1 .LBB19_6
	s_branch .LBB19_156
.LBB19_7:
	s_andn2_saveexec_b64 s[0:1], s[38:39]
	s_cbranch_execz .LBB19_221
.LBB19_8:
	v_cndmask_b32_e64 v0, 0, 1, s[36:37]
	v_cmp_ne_u32_e64 s[0:1], 1, v0
	s_andn2_b64 vcc, exec, s[36:37]
	s_cbranch_vccnz .LBB19_20
; %bb.9:
	s_cmp_lg_u32 s33, 0
	s_waitcnt lgkmcnt(0)
	s_mov_b32 s26, 0
	s_cbranch_scc0 .LBB19_23
; %bb.10:
	s_min_u32 s27, s54, 15
	s_add_i32 s27, s27, 1
	s_cmp_eq_u32 s54, 2
	s_cbranch_scc1 .LBB19_24
; %bb.11:
	s_and_b32 s26, s27, 28
	s_add_u32 s2, s34, 0xc4
	s_addc_u32 s3, s35, 0
	v_mov_b32_e32 v11, 0
	s_mov_b32 s28, 0
	s_mov_b64 s[24:25], s[34:35]
	v_mov_b32_e32 v0, 0
	v_mov_b32_e32 v1, v4
.LBB19_12:                              ; =>This Inner Loop Header: Depth=1
	s_load_dwordx8 s[12:19], s[24:25], 0x4
	s_load_dwordx4 s[20:23], s[24:25], 0x24
	s_load_dwordx8 s[4:11], s[2:3], 0x0
	s_add_u32 s24, s24, 48
	s_addc_u32 s25, s25, 0
	s_waitcnt lgkmcnt(0)
	v_mul_hi_u32 v2, s13, v1
	s_add_i32 s28, s28, 4
	s_add_u32 s2, s2, 32
	s_addc_u32 s3, s3, 0
	v_add_u32_e32 v2, v1, v2
	v_lshrrev_b32_e32 v2, s14, v2
	v_mul_lo_u32 v3, v2, s12
	v_mul_hi_u32 v5, s16, v2
	s_cmp_lg_u32 s26, s28
	v_sub_u32_e32 v1, v1, v3
	v_add_u32_e32 v3, v2, v5
	v_mul_lo_u32 v5, v1, s4
	v_mul_lo_u32 v6, v1, s5
	v_lshrrev_b32_e32 v1, s17, v3
	v_mul_lo_u32 v3, v1, s15
	v_mul_hi_u32 v7, s19, v1
	v_sub_u32_e32 v2, v2, v3
	v_add_u32_e32 v3, v1, v7
	v_lshrrev_b32_e32 v3, s20, v3
	v_mul_hi_u32 v8, s22, v3
	v_mul_lo_u32 v9, v3, s18
	v_mul_lo_u32 v7, v2, s6
	;; [unrolled: 1-line block ×3, first 2 shown]
	v_sub_u32_e32 v9, v1, v9
	v_add_u32_e32 v1, v3, v8
	v_lshrrev_b32_e32 v1, s23, v1
	v_mul_lo_u32 v8, v1, s21
	v_mul_lo_u32 v10, v9, s8
	;; [unrolled: 1-line block ×3, first 2 shown]
	v_add3_u32 v0, v5, v0, v7
	v_sub_u32_e32 v3, v3, v8
	v_mul_lo_u32 v8, v3, s10
	v_mul_lo_u32 v3, v3, s11
	v_add3_u32 v2, v6, v11, v2
	v_add3_u32 v0, v10, v0, v8
	;; [unrolled: 1-line block ×3, first 2 shown]
	s_cbranch_scc1 .LBB19_12
; %bb.13:
	s_and_b32 s6, s27, 3
	s_cmp_eq_u32 s6, 0
	s_cbranch_scc0 .LBB19_25
	s_branch .LBB19_27
.LBB19_14:
	s_or_b64 exec, exec, s[48:49]
	v_cmp_gt_i32_e32 vcc, s55, v4
	s_and_saveexec_b64 s[48:49], vcc
	s_cbranch_execz .LBB19_183
.LBB19_15:
	s_andn2_b64 vcc, exec, s[36:37]
	s_cbranch_vccnz .LBB19_22
; %bb.16:
	s_andn2_b64 vcc, exec, s[46:47]
	s_cbranch_vccnz .LBB19_154
; %bb.17:
	s_add_i32 s58, s56, 1
	s_cmp_eq_u32 s54, 2
	s_cbranch_scc1 .LBB19_191
; %bb.18:
	s_and_b32 s57, s58, 28
	v_mov_b32_e32 v2, 0
	s_mov_b32 s59, 0
	s_mov_b64 s[50:51], s[34:35]
	s_mov_b64 s[52:53], s[44:45]
	v_mov_b32_e32 v0, 0
	v_mov_b32_e32 v1, v4
.LBB19_19:                              ; =>This Inner Loop Header: Depth=1
	s_load_dwordx8 s[8:15], s[50:51], 0x4
	s_load_dwordx4 s[28:31], s[50:51], 0x24
	s_load_dwordx8 s[0:7], s[52:53], 0x0
	s_add_u32 s50, s50, 48
	s_addc_u32 s51, s51, 0
	s_waitcnt lgkmcnt(0)
	v_mul_hi_u32 v3, s9, v1
	s_add_i32 s59, s59, 4
	s_add_u32 s52, s52, 32
	s_addc_u32 s53, s53, 0
	v_add_u32_e32 v3, v1, v3
	v_lshrrev_b32_e32 v3, s10, v3
	v_mul_lo_u32 v5, v3, s8
	v_mul_hi_u32 v6, s12, v3
	s_cmp_eq_u32 s57, s59
	v_sub_u32_e32 v1, v1, v5
	v_add_u32_e32 v5, v3, v6
	v_mul_lo_u32 v6, v1, s0
	v_mul_lo_u32 v7, v1, s1
	v_lshrrev_b32_e32 v1, s13, v5
	v_mul_lo_u32 v5, v1, s11
	v_mul_hi_u32 v8, s15, v1
	v_sub_u32_e32 v3, v3, v5
	v_add_u32_e32 v5, v1, v8
	v_lshrrev_b32_e32 v5, s28, v5
	v_mul_hi_u32 v9, s30, v5
	v_mul_lo_u32 v10, v5, s14
	v_mul_lo_u32 v8, v3, s2
	v_mul_lo_u32 v3, v3, s3
	v_sub_u32_e32 v10, v1, v10
	v_add_u32_e32 v1, v5, v9
	v_lshrrev_b32_e32 v1, s31, v1
	v_mul_lo_u32 v9, v1, s29
	v_mul_lo_u32 v11, v10, s4
	;; [unrolled: 1-line block ×3, first 2 shown]
	v_add3_u32 v0, v6, v0, v8
	v_sub_u32_e32 v5, v5, v9
	v_mul_lo_u32 v9, v5, s6
	v_mul_lo_u32 v5, v5, s7
	v_add3_u32 v2, v7, v2, v3
	v_add3_u32 v0, v11, v0, v9
	;; [unrolled: 1-line block ×3, first 2 shown]
	s_cbranch_scc0 .LBB19_19
	s_branch .LBB19_192
.LBB19_20:
                                        ; implicit-def: $vgpr0
                                        ; implicit-def: $vgpr11
	s_branch .LBB19_28
.LBB19_21:
                                        ; implicit-def: $vgpr0
                                        ; implicit-def: $vgpr2
	s_branch .LBB19_160
.LBB19_22:
                                        ; implicit-def: $vgpr0
                                        ; implicit-def: $vgpr2
	s_branch .LBB19_196
.LBB19_23:
	v_mov_b32_e32 v0, 0
	v_mov_b32_e32 v11, 0
	s_branch .LBB19_27
.LBB19_24:
	v_mov_b32_e32 v0, 0
	v_mov_b32_e32 v11, 0
	;; [unrolled: 1-line block ×3, first 2 shown]
	s_and_b32 s6, s27, 3
	s_cmp_eq_u32 s6, 0
	s_cbranch_scc1 .LBB19_27
.LBB19_25:
	s_lshl_b32 s2, s26, 3
	s_add_u32 s2, s34, s2
	s_addc_u32 s3, s35, 0
	s_add_u32 s2, s2, 0xc4
	s_addc_u32 s3, s3, 0
	s_mul_i32 s4, s26, 12
	s_add_u32 s4, s34, s4
	s_addc_u32 s5, s35, 0
.LBB19_26:                              ; =>This Inner Loop Header: Depth=1
	s_load_dwordx2 s[8:9], s[4:5], 0x4
	s_load_dword s7, s[4:5], 0xc
	s_load_dwordx2 s[10:11], s[2:3], 0x0
	s_add_u32 s4, s4, 12
	s_addc_u32 s5, s5, 0
	s_waitcnt lgkmcnt(0)
	v_mul_hi_u32 v2, s9, v1
	s_add_u32 s2, s2, 8
	s_addc_u32 s3, s3, 0
	s_add_i32 s6, s6, -1
	v_add_u32_e32 v2, v1, v2
	v_lshrrev_b32_e32 v2, s7, v2
	v_mul_lo_u32 v3, v2, s8
	s_cmp_lg_u32 s6, 0
	v_sub_u32_e32 v3, v1, v3
	v_mad_u64_u32 v[0:1], s[8:9], v3, s10, v[0:1]
	v_mad_u64_u32 v[11:12], s[8:9], v3, s11, v[11:12]
	v_mov_b32_e32 v1, v2
	s_cbranch_scc1 .LBB19_26
.LBB19_27:
	s_cbranch_execnz .LBB19_30
.LBB19_28:
	s_load_dwordx4 s[4:7], s[34:35], 0x4
	s_load_dwordx2 s[2:3], s[34:35], 0xc4
	s_cmp_lt_u32 s33, 2
	s_waitcnt lgkmcnt(0)
	v_mul_hi_u32 v0, s5, v4
	v_add_u32_e32 v0, v4, v0
	v_lshrrev_b32_e32 v1, s6, v0
	v_mul_lo_u32 v0, v1, s4
	v_sub_u32_e32 v2, v4, v0
	v_mul_lo_u32 v0, v2, s2
	v_mul_lo_u32 v11, v2, s3
	s_cbranch_scc1 .LBB19_30
; %bb.29:
	s_load_dwordx4 s[4:7], s[34:35], 0x10
	s_load_dwordx2 s[2:3], s[34:35], 0xcc
	s_waitcnt lgkmcnt(0)
	v_mul_hi_u32 v2, s5, v1
	v_add_u32_e32 v2, v1, v2
	v_lshrrev_b32_e32 v2, s6, v2
	v_mul_lo_u32 v2, v2, s4
	v_sub_u32_e32 v2, v1, v2
	v_mad_u64_u32 v[0:1], s[4:5], v2, s2, v[0:1]
	v_mad_u64_u32 v[11:12], s[2:3], v2, s3, v[11:12]
.LBB19_30:
	s_and_b64 vcc, exec, s[0:1]
	v_add_u32_e32 v3, 0x80, v4
	s_cbranch_vccnz .LBB19_36
; %bb.31:
	s_cmp_lg_u32 s33, 0
	s_waitcnt lgkmcnt(0)
	s_mov_b32 s26, 0
	s_cbranch_scc0 .LBB19_37
; %bb.32:
	s_min_u32 s27, s54, 15
	s_add_i32 s27, s27, 1
	s_cmp_eq_u32 s54, 2
	s_cbranch_scc1 .LBB19_38
; %bb.33:
	s_and_b32 s26, s27, 28
	s_add_u32 s2, s34, 0xc4
	s_addc_u32 s3, s35, 0
	v_mov_b32_e32 v9, 0
	s_mov_b32 s28, 0
	s_mov_b64 s[24:25], s[34:35]
	v_mov_b32_e32 v1, 0
	v_mov_b32_e32 v2, v3
.LBB19_34:                              ; =>This Inner Loop Header: Depth=1
	s_load_dwordx8 s[12:19], s[24:25], 0x4
	s_load_dwordx4 s[20:23], s[24:25], 0x24
	s_load_dwordx8 s[4:11], s[2:3], 0x0
	s_add_u32 s24, s24, 48
	s_addc_u32 s25, s25, 0
	s_waitcnt lgkmcnt(0)
	v_mul_hi_u32 v5, s13, v2
	s_add_i32 s28, s28, 4
	s_add_u32 s2, s2, 32
	s_addc_u32 s3, s3, 0
	v_add_u32_e32 v5, v2, v5
	v_lshrrev_b32_e32 v5, s14, v5
	v_mul_lo_u32 v6, v5, s12
	v_mul_hi_u32 v7, s16, v5
	s_cmp_lg_u32 s26, s28
	v_sub_u32_e32 v2, v2, v6
	v_add_u32_e32 v6, v5, v7
	v_mul_lo_u32 v7, v2, s4
	v_mul_lo_u32 v8, v2, s5
	v_lshrrev_b32_e32 v2, s17, v6
	v_mul_lo_u32 v6, v2, s15
	v_mul_hi_u32 v10, s19, v2
	v_sub_u32_e32 v5, v5, v6
	v_add_u32_e32 v6, v2, v10
	v_lshrrev_b32_e32 v6, s20, v6
	v_mul_hi_u32 v12, s22, v6
	v_mul_lo_u32 v14, v6, s18
	v_mul_lo_u32 v10, v5, s6
	;; [unrolled: 1-line block ×3, first 2 shown]
	v_sub_u32_e32 v14, v2, v14
	v_add_u32_e32 v2, v6, v12
	v_lshrrev_b32_e32 v2, s23, v2
	v_mul_lo_u32 v12, v2, s21
	v_mul_lo_u32 v15, v14, s8
	;; [unrolled: 1-line block ×3, first 2 shown]
	v_add3_u32 v1, v7, v1, v10
	v_sub_u32_e32 v6, v6, v12
	v_mul_lo_u32 v12, v6, s10
	v_mul_lo_u32 v6, v6, s11
	v_add3_u32 v5, v8, v9, v5
	v_add3_u32 v1, v15, v1, v12
	;; [unrolled: 1-line block ×3, first 2 shown]
	s_cbranch_scc1 .LBB19_34
; %bb.35:
	s_and_b32 s6, s27, 3
	s_cmp_eq_u32 s6, 0
	s_cbranch_scc0 .LBB19_39
	s_branch .LBB19_41
.LBB19_36:
                                        ; implicit-def: $vgpr1
                                        ; implicit-def: $vgpr9
	s_branch .LBB19_42
.LBB19_37:
	v_mov_b32_e32 v1, 0
	v_mov_b32_e32 v9, 0
	s_branch .LBB19_41
.LBB19_38:
	v_mov_b32_e32 v1, 0
	v_mov_b32_e32 v9, 0
	;; [unrolled: 1-line block ×3, first 2 shown]
	s_and_b32 s6, s27, 3
	s_cmp_eq_u32 s6, 0
	s_cbranch_scc1 .LBB19_41
.LBB19_39:
	s_lshl_b32 s2, s26, 3
	s_add_u32 s2, s34, s2
	s_addc_u32 s3, s35, 0
	s_add_u32 s2, s2, 0xc4
	s_addc_u32 s3, s3, 0
	s_mul_i32 s4, s26, 12
	s_add_u32 s4, s34, s4
	s_addc_u32 s5, s35, 0
.LBB19_40:                              ; =>This Inner Loop Header: Depth=1
	s_load_dwordx2 s[8:9], s[4:5], 0x4
	s_load_dword s7, s[4:5], 0xc
	s_load_dwordx2 s[10:11], s[2:3], 0x0
	s_add_u32 s4, s4, 12
	s_addc_u32 s5, s5, 0
	s_waitcnt lgkmcnt(0)
	v_mul_hi_u32 v5, s9, v2
	s_add_u32 s2, s2, 8
	s_addc_u32 s3, s3, 0
	s_add_i32 s6, s6, -1
	v_add_u32_e32 v5, v2, v5
	v_lshrrev_b32_e32 v5, s7, v5
	v_mul_lo_u32 v6, v5, s8
	s_cmp_lg_u32 s6, 0
	v_sub_u32_e32 v6, v2, v6
	v_mad_u64_u32 v[1:2], s[8:9], v6, s10, v[1:2]
	v_mad_u64_u32 v[9:10], s[8:9], v6, s11, v[9:10]
	v_mov_b32_e32 v2, v5
	s_cbranch_scc1 .LBB19_40
.LBB19_41:
	s_cbranch_execnz .LBB19_44
.LBB19_42:
	s_load_dwordx4 s[4:7], s[34:35], 0x4
	s_load_dwordx2 s[2:3], s[34:35], 0xc4
	s_cmp_lt_u32 s33, 2
	s_waitcnt lgkmcnt(0)
	v_mul_hi_u32 v1, s5, v3
	v_add_u32_e32 v1, v3, v1
	v_lshrrev_b32_e32 v2, s6, v1
	v_mul_lo_u32 v1, v2, s4
	v_sub_u32_e32 v3, v3, v1
	v_mul_lo_u32 v1, v3, s2
	v_mul_lo_u32 v9, v3, s3
	s_cbranch_scc1 .LBB19_44
; %bb.43:
	s_load_dwordx4 s[4:7], s[34:35], 0x10
	s_load_dwordx2 s[2:3], s[34:35], 0xcc
	s_waitcnt lgkmcnt(0)
	v_mul_hi_u32 v3, s5, v2
	v_add_u32_e32 v3, v2, v3
	v_lshrrev_b32_e32 v3, s6, v3
	v_mul_lo_u32 v3, v3, s4
	v_sub_u32_e32 v3, v2, v3
	v_mad_u64_u32 v[1:2], s[4:5], v3, s2, v[1:2]
	v_mad_u64_u32 v[9:10], s[2:3], v3, s3, v[9:10]
.LBB19_44:
	s_and_b64 vcc, exec, s[0:1]
	v_add_u32_e32 v4, 0x100, v4
	s_cbranch_vccnz .LBB19_50
; %bb.45:
	s_cmp_lg_u32 s33, 0
	s_waitcnt lgkmcnt(0)
	s_mov_b32 s26, 0
	s_cbranch_scc0 .LBB19_51
; %bb.46:
	s_min_u32 s27, s54, 15
	s_add_i32 s27, s27, 1
	s_cmp_eq_u32 s54, 2
	s_cbranch_scc1 .LBB19_52
; %bb.47:
	s_and_b32 s26, s27, 28
	s_add_u32 s2, s34, 0xc4
	s_addc_u32 s3, s35, 0
	v_mov_b32_e32 v7, 0
	s_mov_b32 s28, 0
	s_mov_b64 s[24:25], s[34:35]
	v_mov_b32_e32 v2, 0
	v_mov_b32_e32 v3, v4
.LBB19_48:                              ; =>This Inner Loop Header: Depth=1
	s_load_dwordx8 s[12:19], s[24:25], 0x4
	s_load_dwordx4 s[20:23], s[24:25], 0x24
	s_load_dwordx8 s[4:11], s[2:3], 0x0
	s_add_u32 s24, s24, 48
	s_addc_u32 s25, s25, 0
	s_waitcnt lgkmcnt(0)
	v_mul_hi_u32 v5, s13, v3
	s_add_i32 s28, s28, 4
	s_add_u32 s2, s2, 32
	s_addc_u32 s3, s3, 0
	v_add_u32_e32 v5, v3, v5
	v_lshrrev_b32_e32 v5, s14, v5
	v_mul_lo_u32 v6, v5, s12
	v_mul_hi_u32 v8, s16, v5
	s_cmp_lg_u32 s26, s28
	v_sub_u32_e32 v3, v3, v6
	v_add_u32_e32 v6, v5, v8
	v_mul_lo_u32 v8, v3, s4
	v_mul_lo_u32 v10, v3, s5
	v_lshrrev_b32_e32 v3, s17, v6
	v_mul_lo_u32 v6, v3, s15
	v_mul_hi_u32 v12, s19, v3
	v_sub_u32_e32 v5, v5, v6
	v_add_u32_e32 v6, v3, v12
	v_lshrrev_b32_e32 v6, s20, v6
	v_mul_hi_u32 v14, s22, v6
	v_mul_lo_u32 v15, v6, s18
	v_mul_lo_u32 v12, v5, s6
	;; [unrolled: 1-line block ×3, first 2 shown]
	v_sub_u32_e32 v15, v3, v15
	v_add_u32_e32 v3, v6, v14
	v_lshrrev_b32_e32 v3, s23, v3
	v_mul_lo_u32 v14, v3, s21
	v_mul_lo_u32 v16, v15, s8
	;; [unrolled: 1-line block ×3, first 2 shown]
	v_add3_u32 v2, v8, v2, v12
	v_sub_u32_e32 v6, v6, v14
	v_mul_lo_u32 v14, v6, s10
	v_mul_lo_u32 v6, v6, s11
	v_add3_u32 v5, v10, v7, v5
	v_add3_u32 v2, v16, v2, v14
	v_add3_u32 v7, v15, v5, v6
	s_cbranch_scc1 .LBB19_48
; %bb.49:
	s_and_b32 s6, s27, 3
	s_cmp_eq_u32 s6, 0
	s_cbranch_scc0 .LBB19_53
	s_branch .LBB19_55
.LBB19_50:
                                        ; implicit-def: $vgpr2
                                        ; implicit-def: $vgpr7
	s_branch .LBB19_56
.LBB19_51:
	v_mov_b32_e32 v2, 0
	v_mov_b32_e32 v7, 0
	s_branch .LBB19_55
.LBB19_52:
	v_mov_b32_e32 v2, 0
	v_mov_b32_e32 v7, 0
	;; [unrolled: 1-line block ×3, first 2 shown]
	s_and_b32 s6, s27, 3
	s_cmp_eq_u32 s6, 0
	s_cbranch_scc1 .LBB19_55
.LBB19_53:
	s_lshl_b32 s2, s26, 3
	s_add_u32 s2, s34, s2
	s_addc_u32 s3, s35, 0
	s_add_u32 s2, s2, 0xc4
	s_addc_u32 s3, s3, 0
	s_mul_i32 s4, s26, 12
	s_add_u32 s4, s34, s4
	s_addc_u32 s5, s35, 0
.LBB19_54:                              ; =>This Inner Loop Header: Depth=1
	s_load_dwordx2 s[8:9], s[4:5], 0x4
	s_load_dword s7, s[4:5], 0xc
	s_load_dwordx2 s[10:11], s[2:3], 0x0
	s_add_u32 s4, s4, 12
	s_addc_u32 s5, s5, 0
	s_waitcnt lgkmcnt(0)
	v_mul_hi_u32 v5, s9, v3
	s_add_u32 s2, s2, 8
	s_addc_u32 s3, s3, 0
	s_add_i32 s6, s6, -1
	v_add_u32_e32 v5, v3, v5
	v_lshrrev_b32_e32 v5, s7, v5
	v_mul_lo_u32 v6, v5, s8
	s_cmp_lg_u32 s6, 0
	v_sub_u32_e32 v6, v3, v6
	v_mad_u64_u32 v[2:3], s[8:9], v6, s10, v[2:3]
	v_mad_u64_u32 v[7:8], s[8:9], v6, s11, v[7:8]
	v_mov_b32_e32 v3, v5
	s_cbranch_scc1 .LBB19_54
.LBB19_55:
	s_cbranch_execnz .LBB19_58
.LBB19_56:
	s_load_dwordx4 s[4:7], s[34:35], 0x4
	s_load_dwordx2 s[2:3], s[34:35], 0xc4
	s_cmp_lt_u32 s33, 2
	s_waitcnt lgkmcnt(0)
	v_mul_hi_u32 v2, s5, v4
	v_add_u32_e32 v2, v4, v2
	v_lshrrev_b32_e32 v3, s6, v2
	v_mul_lo_u32 v2, v3, s4
	v_sub_u32_e32 v4, v4, v2
	v_mul_lo_u32 v2, v4, s2
	v_mul_lo_u32 v7, v4, s3
	s_cbranch_scc1 .LBB19_58
; %bb.57:
	s_load_dwordx4 s[4:7], s[34:35], 0x10
	s_load_dwordx2 s[2:3], s[34:35], 0xcc
	s_waitcnt lgkmcnt(0)
	v_mul_hi_u32 v4, s5, v3
	v_add_u32_e32 v4, v3, v4
	v_lshrrev_b32_e32 v4, s6, v4
	v_mul_lo_u32 v4, v4, s4
	v_sub_u32_e32 v4, v3, v4
	v_mad_u64_u32 v[2:3], s[4:5], v4, s2, v[2:3]
	v_mad_u64_u32 v[7:8], s[2:3], v4, s3, v[7:8]
.LBB19_58:
	s_and_b64 vcc, exec, s[0:1]
	s_cbranch_vccnz .LBB19_64
; %bb.59:
	s_cmp_lg_u32 s33, 0
	s_waitcnt lgkmcnt(0)
	s_mov_b32 s24, 0
	s_cbranch_scc0 .LBB19_65
; %bb.60:
	s_min_u32 s25, s54, 15
	s_add_i32 s25, s25, 1
	s_cmp_eq_u32 s54, 2
	s_cbranch_scc1 .LBB19_66
; %bb.61:
	s_and_b32 s24, s25, 28
	s_add_u32 s20, s34, 0xc4
	s_addc_u32 s21, s35, 0
	v_mov_b32_e32 v5, 0
	s_mov_b32 s26, 0
	s_mov_b64 s[22:23], s[34:35]
	v_mov_b32_e32 v3, 0
	v_mov_b32_e32 v4, v13
.LBB19_62:                              ; =>This Inner Loop Header: Depth=1
	s_load_dwordx8 s[8:15], s[22:23], 0x4
	s_load_dwordx4 s[16:19], s[22:23], 0x24
	s_load_dwordx8 s[0:7], s[20:21], 0x0
	s_add_u32 s22, s22, 48
	s_addc_u32 s23, s23, 0
	s_waitcnt lgkmcnt(0)
	v_mul_hi_u32 v6, s9, v4
	s_add_i32 s26, s26, 4
	s_add_u32 s20, s20, 32
	s_addc_u32 s21, s21, 0
	v_add_u32_e32 v6, v4, v6
	v_lshrrev_b32_e32 v6, s10, v6
	v_mul_lo_u32 v8, v6, s8
	v_mul_hi_u32 v10, s12, v6
	s_cmp_lg_u32 s24, s26
	v_sub_u32_e32 v4, v4, v8
	v_add_u32_e32 v8, v6, v10
	v_mul_lo_u32 v10, v4, s0
	v_mul_lo_u32 v12, v4, s1
	v_lshrrev_b32_e32 v4, s13, v8
	v_mul_lo_u32 v8, v4, s11
	v_mul_hi_u32 v14, s15, v4
	v_sub_u32_e32 v6, v6, v8
	v_add_u32_e32 v8, v4, v14
	v_lshrrev_b32_e32 v8, s16, v8
	v_mul_hi_u32 v15, s18, v8
	v_mul_lo_u32 v16, v8, s14
	v_mul_lo_u32 v14, v6, s2
	v_mul_lo_u32 v6, v6, s3
	v_sub_u32_e32 v16, v4, v16
	v_add_u32_e32 v4, v8, v15
	v_lshrrev_b32_e32 v4, s19, v4
	v_mul_lo_u32 v15, v4, s17
	v_mul_lo_u32 v17, v16, s4
	;; [unrolled: 1-line block ×3, first 2 shown]
	v_add3_u32 v3, v10, v3, v14
	v_sub_u32_e32 v8, v8, v15
	v_mul_lo_u32 v15, v8, s6
	v_mul_lo_u32 v8, v8, s7
	v_add3_u32 v5, v12, v5, v6
	v_add3_u32 v3, v17, v3, v15
	;; [unrolled: 1-line block ×3, first 2 shown]
	s_cbranch_scc1 .LBB19_62
; %bb.63:
	s_and_b32 s4, s25, 3
	s_cmp_eq_u32 s4, 0
	s_cbranch_scc0 .LBB19_67
	s_branch .LBB19_69
.LBB19_64:
                                        ; implicit-def: $vgpr3
                                        ; implicit-def: $vgpr5
	s_branch .LBB19_70
.LBB19_65:
	v_mov_b32_e32 v3, 0
	v_mov_b32_e32 v5, 0
	s_branch .LBB19_69
.LBB19_66:
	v_mov_b32_e32 v3, 0
	v_mov_b32_e32 v5, 0
	;; [unrolled: 1-line block ×3, first 2 shown]
	s_and_b32 s4, s25, 3
	s_cmp_eq_u32 s4, 0
	s_cbranch_scc1 .LBB19_69
.LBB19_67:
	s_lshl_b32 s0, s24, 3
	s_add_u32 s0, s34, s0
	s_addc_u32 s1, s35, 0
	s_add_u32 s0, s0, 0xc4
	s_addc_u32 s1, s1, 0
	s_mul_i32 s2, s24, 12
	s_add_u32 s2, s34, s2
	s_addc_u32 s3, s35, 0
.LBB19_68:                              ; =>This Inner Loop Header: Depth=1
	s_load_dwordx2 s[6:7], s[2:3], 0x4
	s_load_dword s5, s[2:3], 0xc
	s_load_dwordx2 s[8:9], s[0:1], 0x0
	s_add_u32 s2, s2, 12
	s_addc_u32 s3, s3, 0
	s_waitcnt lgkmcnt(0)
	v_mul_hi_u32 v6, s7, v4
	s_add_u32 s0, s0, 8
	s_addc_u32 s1, s1, 0
	s_add_i32 s4, s4, -1
	v_add_u32_e32 v6, v4, v6
	v_lshrrev_b32_e32 v8, s5, v6
	v_mul_lo_u32 v6, v8, s6
	s_cmp_lg_u32 s4, 0
	v_sub_u32_e32 v6, v4, v6
	v_mad_u64_u32 v[3:4], s[6:7], v6, s8, v[3:4]
	v_mad_u64_u32 v[5:6], s[6:7], v6, s9, v[5:6]
	v_mov_b32_e32 v4, v8
	s_cbranch_scc1 .LBB19_68
.LBB19_69:
	s_cbranch_execnz .LBB19_72
.LBB19_70:
	s_load_dwordx4 s[0:3], s[34:35], 0x4
	s_load_dwordx2 s[4:5], s[34:35], 0xc4
	s_cmp_lt_u32 s33, 2
	s_waitcnt lgkmcnt(0)
	v_mul_hi_u32 v3, s1, v13
	v_add_u32_e32 v3, v13, v3
	v_lshrrev_b32_e32 v4, s2, v3
	v_mul_lo_u32 v3, v4, s0
	v_sub_u32_e32 v5, v13, v3
	v_mul_lo_u32 v3, v5, s4
	v_mul_lo_u32 v5, v5, s5
	s_cbranch_scc1 .LBB19_72
; %bb.71:
	s_load_dwordx4 s[0:3], s[34:35], 0x10
	s_load_dwordx2 s[4:5], s[34:35], 0xcc
	s_waitcnt lgkmcnt(0)
	v_mul_hi_u32 v6, s1, v4
	v_add_u32_e32 v6, v4, v6
	v_lshrrev_b32_e32 v6, s2, v6
	v_mul_lo_u32 v6, v6, s0
	v_sub_u32_e32 v6, v4, v6
	v_mad_u64_u32 v[3:4], s[0:1], v6, s4, v[3:4]
	v_mad_u64_u32 v[5:6], s[0:1], v6, s5, v[5:6]
.LBB19_72:
	s_load_dwordx4 s[8:11], s[34:35], 0x148
	s_mov_b32 s0, 0x40a00000
                                        ; implicit-def: $vgpr4
	s_waitcnt lgkmcnt(0)
	global_load_dword v6, v11, s[10:11]
	s_waitcnt vmcnt(0)
	v_cmp_ge_f32_e32 vcc, s0, v6
	s_and_saveexec_b64 s[0:1], vcc
	s_xor_b64 s[2:3], exec, s[0:1]
	s_cbranch_execz .LBB19_82
; %bb.73:
	v_cmp_neq_f32_e32 vcc, 0, v6
	v_mov_b32_e32 v4, 0xff800000
	s_and_saveexec_b64 s[4:5], vcc
	s_cbranch_execz .LBB19_81
; %bb.74:
	v_cmp_ngt_f32_e32 vcc, 0, v6
	v_mov_b32_e32 v4, 0x7fc00000
	s_and_saveexec_b64 s[6:7], vcc
	s_cbranch_execz .LBB19_80
; %bb.75:
	v_mul_f32_e32 v4, v6, v6
	s_mov_b32 s0, 0x3727c5ac
	v_mul_f32_e32 v10, 0, v4
	v_cmp_ngt_f32_e32 vcc, s0, v6
                                        ; implicit-def: $vgpr8
	s_and_saveexec_b64 s[0:1], vcc
	s_xor_b64 s[0:1], exec, s[0:1]
	s_cbranch_execz .LBB19_77
; %bb.76:
	v_add_f32_e32 v8, 0xcf8ee29d, v10
	v_mov_b32_e32 v11, 0x53e3ba8e
	v_fmac_f32_e32 v11, v4, v8
	v_mov_b32_e32 v8, 0xd762b0a7
	v_fmac_f32_e32 v8, v4, v11
	v_add_f32_e32 v11, 0x43f9c815, v10
	v_mov_b32_e32 v12, 0x4829b65a
	v_fmac_f32_e32 v12, v4, v11
	v_mov_b32_e32 v11, 0x4c38c9a1
	v_fmac_f32_e32 v11, v4, v12
	v_mov_b32_e32 v12, 0x5026ad80
	v_fmac_f32_e32 v12, v4, v11
	v_mov_b32_e32 v11, 0x53f5f59c
	v_fmac_f32_e32 v11, v4, v12
	v_mov_b32_e32 v12, 0x578d3514
	v_fmac_f32_e32 v12, v4, v11
	v_mov_b32_e32 v11, 0x5ae20a0c
	v_fmac_f32_e32 v11, v4, v12
	v_mov_b32_e32 v12, 0x5dbdf1a6
	v_fmac_f32_e32 v12, v4, v11
	v_mov_b32_e32 v11, 0x5a09f7c3
	v_fmac_f32_e32 v11, v4, v8
	v_add_f32_e32 v8, 0xc0b90fdc, v4
	v_add_f32_e32 v13, 0xc1f3c525, v4
	v_mul_f32_e32 v8, v8, v13
	v_mul_f32_e32 v8, v8, v11
	v_div_scale_f32 v11, s[12:13], v12, v12, v8
	v_div_scale_f32 v13, vcc, v8, v12, v8
	v_rcp_f32_e32 v14, v11
	v_fma_f32 v15, -v11, v14, 1.0
	v_fmac_f32_e32 v14, v15, v14
	v_mul_f32_e32 v15, v13, v14
	v_fma_f32 v16, -v11, v15, v13
	v_fmac_f32_e32 v15, v16, v14
	v_fma_f32 v11, -v11, v15, v13
	v_div_fmas_f32 v11, v11, v14, v15
	v_div_fixup_f32 v8, v11, v12, v8
.LBB19_77:
	s_andn2_saveexec_b64 s[0:1], s[0:1]
; %bb.78:
	s_mov_b32 s12, 0xbe800000
	v_fma_f32 v8, v4, s12, 1.0
; %bb.79:
	s_or_b64 exec, exec, s[0:1]
	v_add_f32_e32 v11, 0x4673a1bf, v10
	v_mov_b32_e32 v12, 0xcb5fc0fa
	v_fmac_f32_e32 v12, v4, v11
	v_mov_b32_e32 v11, 0x4fa1fbc8
	v_fmac_f32_e32 v11, v4, v12
	;; [unrolled: 2-line block ×6, first 2 shown]
	v_add_f32_e32 v10, 0x44822913, v10
	v_mov_b32_e32 v12, 0x4918dbb5
	v_fmac_f32_e32 v12, v4, v10
	v_mov_b32_e32 v10, 0x4d803b1b
	v_fmac_f32_e32 v10, v4, v12
	;; [unrolled: 2-line block ×7, first 2 shown]
	v_div_scale_f32 v4, s[0:1], v10, v10, v12
	v_div_scale_f32 v11, vcc, v12, v10, v12
	s_mov_b32 s0, 0x800000
	v_rcp_f32_e32 v13, v4
	v_fma_f32 v14, -v4, v13, 1.0
	v_fmac_f32_e32 v13, v14, v13
	v_mul_f32_e32 v14, v11, v13
	v_fma_f32 v15, -v4, v14, v11
	v_fmac_f32_e32 v14, v15, v13
	v_fma_f32 v4, -v4, v14, v11
	v_div_fmas_f32 v4, v4, v13, v14
	v_cmp_gt_f32_e32 vcc, s0, v6
	v_cndmask_b32_e64 v11, 0, 32, vcc
	v_ldexp_f32 v6, v6, v11
	v_log_f32_e32 v6, v6
	s_mov_b32 s0, 0x3f317217
	v_mul_f32_e32 v11, 0x3f317217, v6
	v_fma_f32 v11, v6, s0, -v11
	v_fmac_f32_e32 v11, 0x3377d1cf, v6
	s_mov_b32 s0, 0x7f800000
	v_fmac_f32_e32 v11, 0x3f317217, v6
	v_cmp_lt_f32_e64 s[0:1], |v6|, s0
	v_cndmask_b32_e64 v6, v6, v11, s[0:1]
	v_div_fixup_f32 v4, v4, v10, v12
	v_mov_b32_e32 v10, 0x41b17218
	v_cndmask_b32_e32 v10, 0, v10, vcc
	v_sub_f32_e32 v6, v6, v10
	v_mul_f32_e32 v6, 0x3f22f983, v6
	v_fmac_f32_e32 v4, v6, v8
.LBB19_80:
	s_or_b64 exec, exec, s[6:7]
.LBB19_81:
	s_or_b64 exec, exec, s[4:5]
                                        ; implicit-def: $vgpr6
.LBB19_82:
	s_andn2_saveexec_b64 s[6:7], s[2:3]
	s_cbranch_execz .LBB19_92
; %bb.83:
	v_add_f32_e32 v4, 0xbf490fdb, v6
	v_and_b32_e32 v8, 0x7fffffff, v4
	s_brev_b32 s0, 18
	v_cmp_nlt_f32_e64 s[12:13], |v4|, s0
	v_lshrrev_b32_e32 v14, 23, v8
                                        ; implicit-def: $vgpr10
                                        ; implicit-def: $vgpr11
	s_and_saveexec_b64 s[0:1], s[12:13]
	s_xor_b64 s[14:15], exec, s[0:1]
	s_cbranch_execz .LBB19_85
; %bb.84:
	v_and_b32_e32 v10, 0x7fffff, v8
	v_or_b32_e32 v13, 0x800000, v10
	s_mov_b32 s0, 0xfe5163ab
	v_mad_u64_u32 v[10:11], s[0:1], v13, s0, 0
	v_mov_b32_e32 v12, 0
	s_mov_b32 s0, 0x3c439041
	v_mad_u64_u32 v[15:16], s[0:1], v13, s0, v[11:12]
	s_mov_b32 s0, 0xdb629599
	v_add_u32_e32 v20, 0xffffff88, v14
	v_mov_b32_e32 v11, v16
	v_mad_u64_u32 v[16:17], s[0:1], v13, s0, v[11:12]
	s_mov_b32 s0, 0xf534ddc0
	v_not_b32_e32 v21, 63
	v_mov_b32_e32 v11, v17
	v_mad_u64_u32 v[17:18], s[0:1], v13, s0, v[11:12]
	s_mov_b32 s0, 0xfc2757d1
	v_cmp_lt_u32_e32 vcc, 63, v20
	v_mov_b32_e32 v11, v18
	v_mad_u64_u32 v[18:19], s[0:1], v13, s0, v[11:12]
	v_cndmask_b32_e32 v11, 0, v21, vcc
	v_add_u32_e32 v21, v11, v20
	v_mov_b32_e32 v11, v19
	s_mov_b32 s0, 0x4e441529
	v_mad_u64_u32 v[19:20], s[0:1], v13, s0, v[11:12]
	v_not_b32_e32 v22, 31
	v_cmp_lt_u32_e64 s[0:1], 31, v21
	v_cndmask_b32_e64 v11, 0, v22, s[0:1]
	v_add_u32_e32 v21, v11, v21
	v_mov_b32_e32 v11, v20
	s_mov_b32 s2, 0xa2f9836e
	v_mad_u64_u32 v[11:12], s[2:3], v13, s2, v[11:12]
	v_cmp_lt_u32_e64 s[2:3], 31, v21
	v_cndmask_b32_e64 v13, 0, v22, s[2:3]
	v_cndmask_b32_e32 v20, v19, v17, vcc
	v_cndmask_b32_e32 v11, v11, v18, vcc
	;; [unrolled: 1-line block ×3, first 2 shown]
	v_add_u32_e32 v13, v13, v21
	v_cndmask_b32_e64 v21, v11, v20, s[0:1]
	v_cndmask_b32_e64 v11, v12, v11, s[0:1]
	v_cndmask_b32_e32 v12, v18, v16, vcc
	v_cndmask_b32_e64 v18, v20, v12, s[0:1]
	v_cndmask_b32_e64 v11, v11, v21, s[2:3]
	;; [unrolled: 1-line block ×3, first 2 shown]
	v_sub_u32_e32 v20, 32, v13
	v_alignbit_b32 v21, v11, v19, v20
	v_cmp_eq_u32_e64 s[4:5], 0, v13
	v_cndmask_b32_e64 v13, v21, v11, s[4:5]
	v_cndmask_b32_e32 v11, v17, v15, vcc
	v_cndmask_b32_e64 v12, v12, v11, s[0:1]
	v_cndmask_b32_e64 v15, v18, v12, s[2:3]
	v_alignbit_b32 v17, v19, v15, v20
	v_cndmask_b32_e32 v10, v16, v10, vcc
	v_cndmask_b32_e64 v17, v17, v19, s[4:5]
	v_bfe_u32 v21, v13, 29, 1
	v_cndmask_b32_e64 v10, v11, v10, s[0:1]
	v_alignbit_b32 v18, v13, v17, 30
	v_sub_u32_e32 v22, 0, v21
	v_cndmask_b32_e64 v10, v12, v10, s[2:3]
	v_xor_b32_e32 v18, v18, v22
	v_alignbit_b32 v11, v15, v10, v20
	v_cndmask_b32_e64 v11, v11, v15, s[4:5]
	v_ffbh_u32_e32 v15, v18
	v_alignbit_b32 v12, v17, v11, 30
	v_min_u32_e32 v15, 32, v15
	v_alignbit_b32 v10, v11, v10, 30
	v_xor_b32_e32 v12, v12, v22
	v_sub_u32_e32 v16, 31, v15
	v_xor_b32_e32 v10, v10, v22
	v_alignbit_b32 v17, v18, v12, v16
	v_alignbit_b32 v10, v12, v10, v16
	;; [unrolled: 1-line block ×3, first 2 shown]
	v_ffbh_u32_e32 v12, v11
	v_min_u32_e32 v12, 32, v12
	v_lshrrev_b32_e32 v19, 29, v13
	v_not_b32_e32 v16, v12
	v_alignbit_b32 v10, v11, v10, v16
	v_lshlrev_b32_e32 v11, 31, v19
	v_or_b32_e32 v16, 0x33000000, v11
	v_add_lshl_u32 v12, v12, v15, 23
	v_lshrrev_b32_e32 v10, 9, v10
	v_sub_u32_e32 v12, v16, v12
	v_or_b32_e32 v11, 0.5, v11
	v_lshlrev_b32_e32 v15, 23, v15
	v_or_b32_e32 v10, v12, v10
	v_lshrrev_b32_e32 v12, 9, v17
	v_sub_u32_e32 v11, v11, v15
	v_or_b32_e32 v11, v12, v11
	s_mov_b32 s0, 0x3fc90fda
	v_mul_f32_e32 v12, 0x3fc90fda, v11
	v_fma_f32 v15, v11, s0, -v12
	v_fmac_f32_e32 v15, 0x33a22168, v11
	v_fmac_f32_e32 v15, 0x3fc90fda, v10
	v_lshrrev_b32_e32 v10, 30, v13
	v_add_f32_e32 v11, v12, v15
	v_add_u32_e32 v10, v21, v10
	s_andn2_saveexec_b64 s[0:1], s[14:15]
	s_cbranch_execz .LBB19_87
	s_branch .LBB19_86
.LBB19_85:
	s_andn2_saveexec_b64 s[0:1], s[14:15]
	s_cbranch_execz .LBB19_87
.LBB19_86:
	s_mov_b32 s2, 0x3f22f983
	v_mul_f32_e64 v10, |v4|, s2
	v_rndne_f32_e32 v12, v10
	s_mov_b32 s2, 0xbfc90fda
	v_cvt_i32_f32_e32 v10, v12
	v_fma_f32 v11, v12, s2, |v4|
	v_fmac_f32_e32 v11, 0xb3a22168, v12
	v_fmac_f32_e32 v11, 0xa7c234c4, v12
.LBB19_87:
	s_or_b64 exec, exec, s[0:1]
                                        ; implicit-def: $vgpr12
                                        ; implicit-def: $vgpr13
	s_and_saveexec_b64 s[0:1], s[12:13]
	s_xor_b64 s[12:13], exec, s[0:1]
	s_cbranch_execz .LBB19_89
; %bb.88:
	v_and_b32_e32 v12, 0x7fffff, v8
	v_or_b32_e32 v21, 0x800000, v12
	s_mov_b32 s0, 0xfe5163ab
	v_mad_u64_u32 v[12:13], s[0:1], v21, s0, 0
	v_mov_b32_e32 v16, 0
	s_mov_b32 s0, 0x3c439041
	v_mov_b32_e32 v15, v13
	v_mad_u64_u32 v[17:18], s[0:1], v21, s0, v[15:16]
	s_mov_b32 s0, 0xdb629599
	v_add_u32_e32 v22, 0xffffff88, v14
	v_mov_b32_e32 v15, v18
	v_mad_u64_u32 v[18:19], s[0:1], v21, s0, v[15:16]
	s_mov_b32 s0, 0xf534ddc0
	v_not_b32_e32 v23, 63
	v_mov_b32_e32 v15, v19
	v_mad_u64_u32 v[19:20], s[0:1], v21, s0, v[15:16]
	s_mov_b32 s0, 0xfc2757d1
	v_cmp_lt_u32_e32 vcc, 63, v22
	v_mov_b32_e32 v15, v20
	v_mad_u64_u32 v[13:14], s[0:1], v21, s0, v[15:16]
	v_cndmask_b32_e32 v15, 0, v23, vcc
	v_add_u32_e32 v20, v15, v22
	v_mov_b32_e32 v15, v14
	s_mov_b32 s0, 0x4e441529
	v_mad_u64_u32 v[14:15], s[0:1], v21, s0, v[15:16]
	v_not_b32_e32 v22, 31
	v_cmp_lt_u32_e64 s[0:1], 31, v20
	s_mov_b32 s2, 0xa2f9836e
	v_cndmask_b32_e64 v23, 0, v22, s[0:1]
	v_mad_u64_u32 v[15:16], s[2:3], v21, s2, v[15:16]
	v_add_u32_e32 v20, v23, v20
	v_cmp_lt_u32_e64 s[2:3], 31, v20
	v_cndmask_b32_e64 v21, 0, v22, s[2:3]
	v_add_u32_e32 v20, v21, v20
	v_cndmask_b32_e32 v21, v14, v19, vcc
	v_cndmask_b32_e32 v15, v15, v13, vcc
	;; [unrolled: 1-line block ×4, first 2 shown]
	v_cndmask_b32_e64 v22, v15, v21, s[0:1]
	v_cndmask_b32_e64 v14, v14, v15, s[0:1]
	;; [unrolled: 1-line block ×3, first 2 shown]
	v_cndmask_b32_e32 v17, v19, v17, vcc
	v_cndmask_b32_e64 v14, v14, v22, s[2:3]
	v_cndmask_b32_e64 v16, v22, v15, s[2:3]
	v_sub_u32_e32 v21, 32, v20
	v_cndmask_b32_e64 v13, v13, v17, s[0:1]
	v_alignbit_b32 v22, v14, v16, v21
	v_cmp_eq_u32_e64 s[4:5], 0, v20
	v_cndmask_b32_e64 v15, v15, v13, s[2:3]
	v_cndmask_b32_e32 v12, v18, v12, vcc
	v_cndmask_b32_e64 v14, v22, v14, s[4:5]
	v_alignbit_b32 v19, v16, v15, v21
	v_cndmask_b32_e64 v12, v17, v12, s[0:1]
	v_cndmask_b32_e64 v16, v19, v16, s[4:5]
	v_bfe_u32 v22, v14, 29, 1
	v_cndmask_b32_e64 v12, v13, v12, s[2:3]
	v_alignbit_b32 v19, v14, v16, 30
	v_sub_u32_e32 v23, 0, v22
	v_alignbit_b32 v13, v15, v12, v21
	v_xor_b32_e32 v19, v19, v23
	v_cndmask_b32_e64 v13, v13, v15, s[4:5]
	v_alignbit_b32 v15, v16, v13, 30
	v_ffbh_u32_e32 v16, v19
	v_min_u32_e32 v16, 32, v16
	v_alignbit_b32 v12, v13, v12, 30
	v_xor_b32_e32 v15, v15, v23
	v_sub_u32_e32 v17, 31, v16
	v_xor_b32_e32 v12, v12, v23
	v_alignbit_b32 v18, v19, v15, v17
	v_alignbit_b32 v12, v15, v12, v17
	;; [unrolled: 1-line block ×3, first 2 shown]
	v_ffbh_u32_e32 v15, v13
	v_min_u32_e32 v15, 32, v15
	v_lshrrev_b32_e32 v20, 29, v14
	v_not_b32_e32 v17, v15
	v_alignbit_b32 v12, v13, v12, v17
	v_lshlrev_b32_e32 v13, 31, v20
	v_or_b32_e32 v17, 0x33000000, v13
	v_add_lshl_u32 v15, v15, v16, 23
	v_lshrrev_b32_e32 v12, 9, v12
	v_sub_u32_e32 v15, v17, v15
	v_or_b32_e32 v13, 0.5, v13
	v_lshlrev_b32_e32 v16, 23, v16
	v_or_b32_e32 v12, v15, v12
	v_lshrrev_b32_e32 v15, 9, v18
	v_sub_u32_e32 v13, v13, v16
	v_or_b32_e32 v13, v15, v13
	s_mov_b32 s0, 0x3fc90fda
	v_mul_f32_e32 v15, 0x3fc90fda, v13
	v_fma_f32 v16, v13, s0, -v15
	v_fmac_f32_e32 v16, 0x33a22168, v13
	v_fmac_f32_e32 v16, 0x3fc90fda, v12
	v_lshrrev_b32_e32 v12, 30, v14
	v_add_f32_e32 v13, v15, v16
	v_add_u32_e32 v12, v22, v12
	s_andn2_saveexec_b64 s[0:1], s[12:13]
	s_cbranch_execnz .LBB19_90
	s_branch .LBB19_91
.LBB19_89:
	s_andn2_saveexec_b64 s[0:1], s[12:13]
	s_cbranch_execz .LBB19_91
.LBB19_90:
	s_mov_b32 s2, 0x3f22f983
	v_mul_f32_e64 v12, |v4|, s2
	v_rndne_f32_e32 v14, v12
	s_mov_b32 s2, 0xbfc90fda
	v_cvt_i32_f32_e32 v12, v14
	v_fma_f32 v13, v14, s2, |v4|
	v_fmac_f32_e32 v13, 0xb3a22168, v14
	v_fmac_f32_e32 v13, 0xa7c234c4, v14
.LBB19_91:
	s_or_b64 exec, exec, s[0:1]
	v_mul_f32_e32 v14, v6, v6
	s_mov_b32 s2, 0x41c80000
	v_div_scale_f32 v15, s[0:1], v14, v14, s2
	v_div_scale_f32 v16, vcc, s2, v14, s2
	v_mov_b32_e32 v17, 0x3a50e985
	v_mov_b32_e32 v19, 0x3da9a586
	;; [unrolled: 1-line block ×12, first 2 shown]
	v_rcp_f32_e32 v18, v15
	v_mov_b32_e32 v32, 0xc331ae61
	v_mov_b32_e32 v33, 0xc31313d7
	;; [unrolled: 1-line block ×3, first 2 shown]
	v_fma_f32 v22, -v15, v18, 1.0
	v_fmac_f32_e32 v18, v22, v18
	v_mul_f32_e32 v22, v16, v18
	v_fma_f32 v23, -v15, v22, v16
	v_fmac_f32_e32 v22, v23, v18
	v_fma_f32 v15, -v15, v22, v16
	v_div_fmas_f32 v15, v15, v18, v22
	v_mov_b32_e32 v22, 0x3a725406
	v_mov_b32_e32 v23, 0x3daf5e2d
	v_mov_b32_e32 v16, 0x410bf463
	v_mov_b32_e32 v18, 0x40a9b425
	v_mov_b32_e32 v36, 0x3c0881c4
	v_mov_b32_e32 v37, 0xbe2aaa9d
	v_xor_b32_e32 v8, v8, v4
	v_mov_b32_e32 v35, 0x3c0881c4
	v_div_fixup_f32 v15, v15, v14, s2
	v_fmac_f32_e32 v17, 0, v15
	v_fmac_f32_e32 v22, 0, v15
	;; [unrolled: 1-line block ×12, first 2 shown]
	v_fma_f32 v16, v15, v27, 1.0
	v_fma_f32 v17, v15, v18, 1.0
	v_div_scale_f32 v18, s[0:1], v16, v16, v17
	v_div_scale_f32 v22, vcc, v17, v16, v17
	v_mov_b32_e32 v19, 0x4280a2ba
	s_mov_b32 s2, 0x40a00000
	v_fmac_f32_e32 v28, 0, v15
	v_mov_b32_e32 v20, 0x44561b86
	v_div_scale_f32 v39, s[0:1], v6, v6, s2
	v_fmac_f32_e32 v19, 0, v15
	v_fmac_f32_e32 v29, v15, v28
	v_mov_b32_e32 v21, 0x4572a66e
	v_fmac_f32_e32 v20, v15, v19
	v_fmac_f32_e32 v30, v15, v29
	v_mov_b32_e32 v23, 0x45e243be
	v_rcp_f32_e32 v38, v18
	v_fmac_f32_e32 v21, v15, v20
	v_fmac_f32_e32 v31, v15, v30
	v_mov_b32_e32 v24, 0x45b955d1
	v_fma_f32 v40, -v18, v38, 1.0
	v_fmac_f32_e32 v38, v40, v38
	v_mul_f32_e32 v40, v22, v38
	v_fma_f32 v41, -v18, v40, v22
	v_fmac_f32_e32 v40, v41, v38
	v_fma_f32 v18, -v18, v40, v22
	v_div_fmas_f32 v18, v18, v38, v40
	v_fmac_f32_e32 v23, v15, v21
	v_fmac_f32_e32 v32, v15, v31
	v_mov_b32_e32 v25, 0x4500e17e
	v_fmac_f32_e32 v24, v15, v23
	v_fmac_f32_e32 v33, v15, v32
	v_mov_b32_e32 v14, 0xc0c19ac7
	v_mov_b32_e32 v26, 0x43720178
	v_fmac_f32_e32 v25, v15, v24
	v_fmac_f32_e32 v34, v15, v33
	;; [unrolled: 1-line block ×4, first 2 shown]
	v_rcp_f32_e32 v21, v39
	v_mul_f32_e32 v27, v11, v11
	v_mov_b32_e32 v19, 0xbab64f3b
	v_fmac_f32_e32 v36, 0xb94c1982, v27
	v_div_fixup_f32 v15, v18, v16, v17
	v_div_scale_f32 v17, vcc, s2, v6, s2
	v_div_scale_f32 v18, s[0:1], v26, v26, v14
	v_div_scale_f32 v20, s[0:1], v14, v26, v14
	v_fma_f32 v24, -v39, v21, 1.0
	v_fmac_f32_e32 v21, v24, v21
	v_fmac_f32_e32 v19, 0x37d75334, v27
	v_mov_b32_e32 v22, 0x3d2aabf7
	v_fma_f32 v16, v27, v36, v37
	v_fma_f32 v19, v27, v19, v22
	v_mov_b32_e32 v23, 0xbf000004
	v_mul_f32_e32 v16, v27, v16
	v_fma_f32 v19, v27, v19, v23
	v_fmac_f32_e32 v11, v11, v16
	v_mul_f32_e32 v24, v17, v21
	v_fma_f32 v25, -v39, v24, v17
	v_fmac_f32_e32 v24, v25, v21
	v_rcp_f32_e32 v25, v18
	v_fma_f32 v17, -v39, v24, v17
	v_div_fmas_f32 v17, v17, v21, v24
	s_mov_b64 vcc, s[0:1]
	v_fma_f32 v21, -v18, v25, 1.0
	v_fmac_f32_e32 v25, v21, v25
	v_mul_f32_e32 v21, v20, v25
	v_fma_f32 v24, -v18, v21, v20
	v_fmac_f32_e32 v21, v24, v25
	v_fma_f32 v18, -v18, v21, v20
	v_div_fmas_f32 v18, v18, v25, v21
	v_and_b32_e32 v20, 1, v10
	v_lshlrev_b32_e32 v10, 30, v10
	v_fma_f32 v19, v27, v19, 1.0
	v_cmp_eq_u32_e32 vcc, 0, v20
	v_and_b32_e32 v10, 0x80000000, v10
	v_cndmask_b32_e32 v11, v19, v11, vcc
	v_xor_b32_e32 v8, v8, v10
	s_movk_i32 s0, 0x1f8
	v_xor_b32_e32 v8, v8, v11
	v_mov_b32_e32 v10, 0x7fc00000
	v_cmp_class_f32_e64 vcc, v4, s0
	v_cndmask_b32_e32 v4, v10, v8, vcc
	v_div_fixup_f32 v8, v17, v6, s2
	v_mov_b32_e32 v16, 0xbab64f3b
	v_div_fixup_f32 v11, v18, v26, v14
	v_mul_f32_e32 v8, v8, v11
	v_mul_f32_e32 v11, v13, v13
	v_fmac_f32_e32 v35, 0xb94c1982, v11
	v_fmac_f32_e32 v37, v11, v35
	;; [unrolled: 1-line block ×3, first 2 shown]
	v_mul_f32_e32 v14, v11, v37
	v_fmac_f32_e32 v22, v11, v16
	v_fmac_f32_e32 v13, v13, v14
	;; [unrolled: 1-line block ×3, first 2 shown]
	v_and_b32_e32 v14, 1, v12
	v_fma_f32 v11, v11, v23, 1.0
	v_cmp_eq_u32_e64 s[0:1], 0, v14
	v_lshlrev_b32_e32 v12, 30, v12
	v_cndmask_b32_e64 v11, -v13, v11, s[0:1]
	v_and_b32_e32 v12, 0x80000000, v12
	v_xor_b32_e32 v11, v12, v11
	s_mov_b32 s0, 0xf800000
	v_cndmask_b32_e32 v10, v10, v11, vcc
	v_mul_f32_e32 v11, 0x4f800000, v6
	v_cmp_gt_f32_e32 vcc, s0, v6
	v_cndmask_b32_e32 v6, v6, v11, vcc
	v_sqrt_f32_e32 v11, v6
	v_mul_f32_e32 v8, v8, v10
	v_fmac_f32_e32 v8, v15, v4
	v_mul_f32_e32 v4, 0x3f4c422a, v8
	v_add_u32_e32 v8, -1, v11
	v_fma_f32 v10, -v8, v11, v6
	v_cmp_ge_f32_e64 s[0:1], 0, v10
	v_add_u32_e32 v10, 1, v11
	v_cndmask_b32_e64 v8, v11, v8, s[0:1]
	v_fma_f32 v11, -v10, v11, v6
	v_cmp_lt_f32_e64 s[0:1], 0, v11
	v_cndmask_b32_e64 v8, v8, v10, s[0:1]
	v_mul_f32_e32 v10, 0x37800000, v8
	v_cndmask_b32_e32 v8, v8, v10, vcc
	v_mov_b32_e32 v10, 0x260
	v_cmp_class_f32_e32 vcc, v6, v10
	v_cndmask_b32_e32 v6, v8, v6, vcc
	v_div_scale_f32 v8, s[0:1], v6, v6, v4
	v_div_scale_f32 v10, vcc, v4, v6, v4
	v_rcp_f32_e32 v11, v8
	v_fma_f32 v12, -v8, v11, 1.0
	v_fmac_f32_e32 v11, v12, v11
	v_mul_f32_e32 v12, v10, v11
	v_fma_f32 v13, -v8, v12, v10
	v_fmac_f32_e32 v12, v13, v11
	v_fma_f32 v8, -v8, v12, v10
	v_div_fmas_f32 v8, v8, v11, v12
	v_div_fixup_f32 v4, v8, v6, v4
.LBB19_92:
	s_or_b64 exec, exec, s[6:7]
	global_load_dword v8, v9, s[10:11]
	s_mov_b32 s0, 0x40a00000
                                        ; implicit-def: $vgpr6
	s_waitcnt vmcnt(0)
	v_cmp_ge_f32_e32 vcc, s0, v8
	s_and_saveexec_b64 s[0:1], vcc
	s_xor_b64 s[2:3], exec, s[0:1]
	s_cbranch_execz .LBB19_102
; %bb.93:
	v_cmp_neq_f32_e32 vcc, 0, v8
	v_mov_b32_e32 v6, 0xff800000
	s_and_saveexec_b64 s[4:5], vcc
	s_cbranch_execz .LBB19_101
; %bb.94:
	v_cmp_ngt_f32_e32 vcc, 0, v8
	v_mov_b32_e32 v6, 0x7fc00000
	s_and_saveexec_b64 s[6:7], vcc
	s_cbranch_execz .LBB19_100
; %bb.95:
	v_mul_f32_e32 v6, v8, v8
	s_mov_b32 s0, 0x3727c5ac
	v_mul_f32_e32 v10, 0, v6
	v_cmp_ngt_f32_e32 vcc, s0, v8
                                        ; implicit-def: $vgpr9
	s_and_saveexec_b64 s[0:1], vcc
	s_xor_b64 s[0:1], exec, s[0:1]
	s_cbranch_execz .LBB19_97
; %bb.96:
	v_add_f32_e32 v9, 0xcf8ee29d, v10
	v_mov_b32_e32 v11, 0x53e3ba8e
	v_fmac_f32_e32 v11, v6, v9
	v_mov_b32_e32 v9, 0xd762b0a7
	v_fmac_f32_e32 v9, v6, v11
	v_add_f32_e32 v11, 0x43f9c815, v10
	v_mov_b32_e32 v12, 0x4829b65a
	v_fmac_f32_e32 v12, v6, v11
	v_mov_b32_e32 v11, 0x4c38c9a1
	v_fmac_f32_e32 v11, v6, v12
	;; [unrolled: 2-line block ×8, first 2 shown]
	v_add_f32_e32 v9, 0xc0b90fdc, v6
	v_add_f32_e32 v13, 0xc1f3c525, v6
	v_mul_f32_e32 v9, v9, v13
	v_mul_f32_e32 v9, v9, v11
	v_div_scale_f32 v11, s[12:13], v12, v12, v9
	v_div_scale_f32 v13, vcc, v9, v12, v9
	v_rcp_f32_e32 v14, v11
	v_fma_f32 v15, -v11, v14, 1.0
	v_fmac_f32_e32 v14, v15, v14
	v_mul_f32_e32 v15, v13, v14
	v_fma_f32 v16, -v11, v15, v13
	v_fmac_f32_e32 v15, v16, v14
	v_fma_f32 v11, -v11, v15, v13
	v_div_fmas_f32 v11, v11, v14, v15
	v_div_fixup_f32 v9, v11, v12, v9
.LBB19_97:
	s_andn2_saveexec_b64 s[0:1], s[0:1]
; %bb.98:
	s_mov_b32 s12, 0xbe800000
	v_fma_f32 v9, v6, s12, 1.0
; %bb.99:
	s_or_b64 exec, exec, s[0:1]
	v_add_f32_e32 v11, 0x4673a1bf, v10
	v_mov_b32_e32 v12, 0xcb5fc0fa
	v_fmac_f32_e32 v12, v6, v11
	v_mov_b32_e32 v11, 0x4fa1fbc8
	v_fmac_f32_e32 v11, v6, v12
	;; [unrolled: 2-line block ×6, first 2 shown]
	v_add_f32_e32 v10, 0x44822913, v10
	v_mov_b32_e32 v12, 0x4918dbb5
	v_fmac_f32_e32 v12, v6, v10
	v_mov_b32_e32 v10, 0x4d803b1b
	v_fmac_f32_e32 v10, v6, v12
	;; [unrolled: 2-line block ×7, first 2 shown]
	v_div_scale_f32 v6, s[0:1], v10, v10, v12
	v_div_scale_f32 v11, vcc, v12, v10, v12
	s_mov_b32 s0, 0x800000
	v_rcp_f32_e32 v13, v6
	v_fma_f32 v14, -v6, v13, 1.0
	v_fmac_f32_e32 v13, v14, v13
	v_mul_f32_e32 v14, v11, v13
	v_fma_f32 v15, -v6, v14, v11
	v_fmac_f32_e32 v14, v15, v13
	v_fma_f32 v6, -v6, v14, v11
	v_div_fmas_f32 v6, v6, v13, v14
	v_cmp_gt_f32_e32 vcc, s0, v8
	v_cndmask_b32_e64 v11, 0, 32, vcc
	v_ldexp_f32 v8, v8, v11
	v_log_f32_e32 v8, v8
	s_mov_b32 s0, 0x3f317217
	v_mul_f32_e32 v11, 0x3f317217, v8
	v_fma_f32 v11, v8, s0, -v11
	v_fmac_f32_e32 v11, 0x3377d1cf, v8
	s_mov_b32 s0, 0x7f800000
	v_fmac_f32_e32 v11, 0x3f317217, v8
	v_cmp_lt_f32_e64 s[0:1], |v8|, s0
	v_cndmask_b32_e64 v8, v8, v11, s[0:1]
	v_div_fixup_f32 v6, v6, v10, v12
	v_mov_b32_e32 v10, 0x41b17218
	v_cndmask_b32_e32 v10, 0, v10, vcc
	v_sub_f32_e32 v8, v8, v10
	v_mul_f32_e32 v8, 0x3f22f983, v8
	v_fmac_f32_e32 v6, v8, v9
.LBB19_100:
	s_or_b64 exec, exec, s[6:7]
.LBB19_101:
	s_or_b64 exec, exec, s[4:5]
                                        ; implicit-def: $vgpr8
.LBB19_102:
	s_andn2_saveexec_b64 s[6:7], s[2:3]
	s_cbranch_execz .LBB19_112
; %bb.103:
	v_add_f32_e32 v6, 0xbf490fdb, v8
	v_and_b32_e32 v9, 0x7fffffff, v6
	s_brev_b32 s0, 18
	v_cmp_nlt_f32_e64 s[12:13], |v6|, s0
	v_lshrrev_b32_e32 v14, 23, v9
                                        ; implicit-def: $vgpr10
                                        ; implicit-def: $vgpr11
	s_and_saveexec_b64 s[0:1], s[12:13]
	s_xor_b64 s[14:15], exec, s[0:1]
	s_cbranch_execz .LBB19_105
; %bb.104:
	v_and_b32_e32 v10, 0x7fffff, v9
	v_or_b32_e32 v13, 0x800000, v10
	s_mov_b32 s0, 0xfe5163ab
	v_mad_u64_u32 v[10:11], s[0:1], v13, s0, 0
	v_mov_b32_e32 v12, 0
	s_mov_b32 s0, 0x3c439041
	v_mad_u64_u32 v[15:16], s[0:1], v13, s0, v[11:12]
	s_mov_b32 s0, 0xdb629599
	v_add_u32_e32 v20, 0xffffff88, v14
	v_mov_b32_e32 v11, v16
	v_mad_u64_u32 v[16:17], s[0:1], v13, s0, v[11:12]
	s_mov_b32 s0, 0xf534ddc0
	v_not_b32_e32 v21, 63
	v_mov_b32_e32 v11, v17
	v_mad_u64_u32 v[17:18], s[0:1], v13, s0, v[11:12]
	s_mov_b32 s0, 0xfc2757d1
	v_cmp_lt_u32_e32 vcc, 63, v20
	v_mov_b32_e32 v11, v18
	v_mad_u64_u32 v[18:19], s[0:1], v13, s0, v[11:12]
	v_cndmask_b32_e32 v11, 0, v21, vcc
	v_add_u32_e32 v21, v11, v20
	v_mov_b32_e32 v11, v19
	s_mov_b32 s0, 0x4e441529
	v_mad_u64_u32 v[19:20], s[0:1], v13, s0, v[11:12]
	v_not_b32_e32 v22, 31
	v_cmp_lt_u32_e64 s[0:1], 31, v21
	v_cndmask_b32_e64 v11, 0, v22, s[0:1]
	v_add_u32_e32 v21, v11, v21
	v_mov_b32_e32 v11, v20
	s_mov_b32 s2, 0xa2f9836e
	v_mad_u64_u32 v[11:12], s[2:3], v13, s2, v[11:12]
	v_cmp_lt_u32_e64 s[2:3], 31, v21
	v_cndmask_b32_e64 v13, 0, v22, s[2:3]
	v_cndmask_b32_e32 v20, v19, v17, vcc
	v_cndmask_b32_e32 v11, v11, v18, vcc
	v_cndmask_b32_e32 v12, v12, v19, vcc
	v_add_u32_e32 v13, v13, v21
	v_cndmask_b32_e64 v21, v11, v20, s[0:1]
	v_cndmask_b32_e64 v11, v12, v11, s[0:1]
	v_cndmask_b32_e32 v12, v18, v16, vcc
	v_cndmask_b32_e64 v18, v20, v12, s[0:1]
	v_cndmask_b32_e64 v11, v11, v21, s[2:3]
	;; [unrolled: 1-line block ×3, first 2 shown]
	v_sub_u32_e32 v20, 32, v13
	v_alignbit_b32 v21, v11, v19, v20
	v_cmp_eq_u32_e64 s[4:5], 0, v13
	v_cndmask_b32_e64 v13, v21, v11, s[4:5]
	v_cndmask_b32_e32 v11, v17, v15, vcc
	v_cndmask_b32_e64 v12, v12, v11, s[0:1]
	v_cndmask_b32_e64 v15, v18, v12, s[2:3]
	v_alignbit_b32 v17, v19, v15, v20
	v_cndmask_b32_e32 v10, v16, v10, vcc
	v_cndmask_b32_e64 v17, v17, v19, s[4:5]
	v_bfe_u32 v21, v13, 29, 1
	v_cndmask_b32_e64 v10, v11, v10, s[0:1]
	v_alignbit_b32 v18, v13, v17, 30
	v_sub_u32_e32 v22, 0, v21
	v_cndmask_b32_e64 v10, v12, v10, s[2:3]
	v_xor_b32_e32 v18, v18, v22
	v_alignbit_b32 v11, v15, v10, v20
	v_cndmask_b32_e64 v11, v11, v15, s[4:5]
	v_ffbh_u32_e32 v15, v18
	v_alignbit_b32 v12, v17, v11, 30
	v_min_u32_e32 v15, 32, v15
	v_alignbit_b32 v10, v11, v10, 30
	v_xor_b32_e32 v12, v12, v22
	v_sub_u32_e32 v16, 31, v15
	v_xor_b32_e32 v10, v10, v22
	v_alignbit_b32 v17, v18, v12, v16
	v_alignbit_b32 v10, v12, v10, v16
	;; [unrolled: 1-line block ×3, first 2 shown]
	v_ffbh_u32_e32 v12, v11
	v_min_u32_e32 v12, 32, v12
	v_lshrrev_b32_e32 v19, 29, v13
	v_not_b32_e32 v16, v12
	v_alignbit_b32 v10, v11, v10, v16
	v_lshlrev_b32_e32 v11, 31, v19
	v_or_b32_e32 v16, 0x33000000, v11
	v_add_lshl_u32 v12, v12, v15, 23
	v_lshrrev_b32_e32 v10, 9, v10
	v_sub_u32_e32 v12, v16, v12
	v_or_b32_e32 v11, 0.5, v11
	v_lshlrev_b32_e32 v15, 23, v15
	v_or_b32_e32 v10, v12, v10
	v_lshrrev_b32_e32 v12, 9, v17
	v_sub_u32_e32 v11, v11, v15
	v_or_b32_e32 v11, v12, v11
	s_mov_b32 s0, 0x3fc90fda
	v_mul_f32_e32 v12, 0x3fc90fda, v11
	v_fma_f32 v15, v11, s0, -v12
	v_fmac_f32_e32 v15, 0x33a22168, v11
	v_fmac_f32_e32 v15, 0x3fc90fda, v10
	v_lshrrev_b32_e32 v10, 30, v13
	v_add_f32_e32 v11, v12, v15
	v_add_u32_e32 v10, v21, v10
	s_andn2_saveexec_b64 s[0:1], s[14:15]
	s_cbranch_execz .LBB19_107
	s_branch .LBB19_106
.LBB19_105:
	s_andn2_saveexec_b64 s[0:1], s[14:15]
	s_cbranch_execz .LBB19_107
.LBB19_106:
	s_mov_b32 s2, 0x3f22f983
	v_mul_f32_e64 v10, |v6|, s2
	v_rndne_f32_e32 v12, v10
	s_mov_b32 s2, 0xbfc90fda
	v_cvt_i32_f32_e32 v10, v12
	v_fma_f32 v11, v12, s2, |v6|
	v_fmac_f32_e32 v11, 0xb3a22168, v12
	v_fmac_f32_e32 v11, 0xa7c234c4, v12
.LBB19_107:
	s_or_b64 exec, exec, s[0:1]
                                        ; implicit-def: $vgpr12
                                        ; implicit-def: $vgpr13
	s_and_saveexec_b64 s[0:1], s[12:13]
	s_xor_b64 s[12:13], exec, s[0:1]
	s_cbranch_execz .LBB19_109
; %bb.108:
	v_and_b32_e32 v12, 0x7fffff, v9
	v_or_b32_e32 v21, 0x800000, v12
	s_mov_b32 s0, 0xfe5163ab
	v_mad_u64_u32 v[12:13], s[0:1], v21, s0, 0
	v_mov_b32_e32 v16, 0
	s_mov_b32 s0, 0x3c439041
	v_mov_b32_e32 v15, v13
	v_mad_u64_u32 v[17:18], s[0:1], v21, s0, v[15:16]
	s_mov_b32 s0, 0xdb629599
	v_add_u32_e32 v22, 0xffffff88, v14
	v_mov_b32_e32 v15, v18
	v_mad_u64_u32 v[18:19], s[0:1], v21, s0, v[15:16]
	s_mov_b32 s0, 0xf534ddc0
	v_not_b32_e32 v23, 63
	v_mov_b32_e32 v15, v19
	v_mad_u64_u32 v[19:20], s[0:1], v21, s0, v[15:16]
	s_mov_b32 s0, 0xfc2757d1
	v_cmp_lt_u32_e32 vcc, 63, v22
	v_mov_b32_e32 v15, v20
	v_mad_u64_u32 v[13:14], s[0:1], v21, s0, v[15:16]
	v_cndmask_b32_e32 v15, 0, v23, vcc
	v_add_u32_e32 v20, v15, v22
	v_mov_b32_e32 v15, v14
	s_mov_b32 s0, 0x4e441529
	v_mad_u64_u32 v[14:15], s[0:1], v21, s0, v[15:16]
	v_not_b32_e32 v22, 31
	v_cmp_lt_u32_e64 s[0:1], 31, v20
	s_mov_b32 s2, 0xa2f9836e
	v_cndmask_b32_e64 v23, 0, v22, s[0:1]
	v_mad_u64_u32 v[15:16], s[2:3], v21, s2, v[15:16]
	v_add_u32_e32 v20, v23, v20
	v_cmp_lt_u32_e64 s[2:3], 31, v20
	v_cndmask_b32_e64 v21, 0, v22, s[2:3]
	v_add_u32_e32 v20, v21, v20
	v_cndmask_b32_e32 v21, v14, v19, vcc
	v_cndmask_b32_e32 v15, v15, v13, vcc
	;; [unrolled: 1-line block ×4, first 2 shown]
	v_cndmask_b32_e64 v22, v15, v21, s[0:1]
	v_cndmask_b32_e64 v14, v14, v15, s[0:1]
	;; [unrolled: 1-line block ×3, first 2 shown]
	v_cndmask_b32_e32 v17, v19, v17, vcc
	v_cndmask_b32_e64 v14, v14, v22, s[2:3]
	v_cndmask_b32_e64 v16, v22, v15, s[2:3]
	v_sub_u32_e32 v21, 32, v20
	v_cndmask_b32_e64 v13, v13, v17, s[0:1]
	v_alignbit_b32 v22, v14, v16, v21
	v_cmp_eq_u32_e64 s[4:5], 0, v20
	v_cndmask_b32_e64 v15, v15, v13, s[2:3]
	v_cndmask_b32_e32 v12, v18, v12, vcc
	v_cndmask_b32_e64 v14, v22, v14, s[4:5]
	v_alignbit_b32 v19, v16, v15, v21
	v_cndmask_b32_e64 v12, v17, v12, s[0:1]
	v_cndmask_b32_e64 v16, v19, v16, s[4:5]
	v_bfe_u32 v22, v14, 29, 1
	v_cndmask_b32_e64 v12, v13, v12, s[2:3]
	v_alignbit_b32 v19, v14, v16, 30
	v_sub_u32_e32 v23, 0, v22
	v_alignbit_b32 v13, v15, v12, v21
	v_xor_b32_e32 v19, v19, v23
	v_cndmask_b32_e64 v13, v13, v15, s[4:5]
	v_alignbit_b32 v15, v16, v13, 30
	v_ffbh_u32_e32 v16, v19
	v_min_u32_e32 v16, 32, v16
	v_alignbit_b32 v12, v13, v12, 30
	v_xor_b32_e32 v15, v15, v23
	v_sub_u32_e32 v17, 31, v16
	v_xor_b32_e32 v12, v12, v23
	v_alignbit_b32 v18, v19, v15, v17
	v_alignbit_b32 v12, v15, v12, v17
	;; [unrolled: 1-line block ×3, first 2 shown]
	v_ffbh_u32_e32 v15, v13
	v_min_u32_e32 v15, 32, v15
	v_lshrrev_b32_e32 v20, 29, v14
	v_not_b32_e32 v17, v15
	v_alignbit_b32 v12, v13, v12, v17
	v_lshlrev_b32_e32 v13, 31, v20
	v_or_b32_e32 v17, 0x33000000, v13
	v_add_lshl_u32 v15, v15, v16, 23
	v_lshrrev_b32_e32 v12, 9, v12
	v_sub_u32_e32 v15, v17, v15
	v_or_b32_e32 v13, 0.5, v13
	v_lshlrev_b32_e32 v16, 23, v16
	v_or_b32_e32 v12, v15, v12
	v_lshrrev_b32_e32 v15, 9, v18
	v_sub_u32_e32 v13, v13, v16
	v_or_b32_e32 v13, v15, v13
	s_mov_b32 s0, 0x3fc90fda
	v_mul_f32_e32 v15, 0x3fc90fda, v13
	v_fma_f32 v16, v13, s0, -v15
	v_fmac_f32_e32 v16, 0x33a22168, v13
	v_fmac_f32_e32 v16, 0x3fc90fda, v12
	v_lshrrev_b32_e32 v12, 30, v14
	v_add_f32_e32 v13, v15, v16
	v_add_u32_e32 v12, v22, v12
	s_andn2_saveexec_b64 s[0:1], s[12:13]
	s_cbranch_execnz .LBB19_110
	s_branch .LBB19_111
.LBB19_109:
	s_andn2_saveexec_b64 s[0:1], s[12:13]
	s_cbranch_execz .LBB19_111
.LBB19_110:
	s_mov_b32 s2, 0x3f22f983
	v_mul_f32_e64 v12, |v6|, s2
	v_rndne_f32_e32 v14, v12
	s_mov_b32 s2, 0xbfc90fda
	v_cvt_i32_f32_e32 v12, v14
	v_fma_f32 v13, v14, s2, |v6|
	v_fmac_f32_e32 v13, 0xb3a22168, v14
	v_fmac_f32_e32 v13, 0xa7c234c4, v14
.LBB19_111:
	s_or_b64 exec, exec, s[0:1]
	v_mul_f32_e32 v14, v8, v8
	s_mov_b32 s2, 0x41c80000
	v_div_scale_f32 v15, s[0:1], v14, v14, s2
	v_div_scale_f32 v16, vcc, s2, v14, s2
	v_mov_b32_e32 v17, 0x3a50e985
	v_mov_b32_e32 v19, 0x3da9a586
	;; [unrolled: 1-line block ×12, first 2 shown]
	v_rcp_f32_e32 v18, v15
	v_mov_b32_e32 v32, 0xc331ae61
	v_mov_b32_e32 v33, 0xc31313d7
	;; [unrolled: 1-line block ×3, first 2 shown]
	v_fma_f32 v22, -v15, v18, 1.0
	v_fmac_f32_e32 v18, v22, v18
	v_mul_f32_e32 v22, v16, v18
	v_fma_f32 v23, -v15, v22, v16
	v_fmac_f32_e32 v22, v23, v18
	v_fma_f32 v15, -v15, v22, v16
	v_div_fmas_f32 v15, v15, v18, v22
	v_mov_b32_e32 v22, 0x3a725406
	v_mov_b32_e32 v23, 0x3daf5e2d
	v_mov_b32_e32 v16, 0x410bf463
	v_mov_b32_e32 v18, 0x40a9b425
	v_mov_b32_e32 v36, 0x3c0881c4
	v_mov_b32_e32 v37, 0xbe2aaa9d
	v_xor_b32_e32 v9, v9, v6
	v_div_fixup_f32 v35, v15, v14, s2
	v_fmac_f32_e32 v17, 0, v35
	v_fmac_f32_e32 v22, 0, v35
	;; [unrolled: 1-line block ×12, first 2 shown]
	v_fma_f32 v16, v35, v27, 1.0
	v_fma_f32 v17, v35, v18, 1.0
	v_div_scale_f32 v18, s[0:1], v16, v16, v17
	v_div_scale_f32 v22, vcc, v17, v16, v17
	s_mov_b32 s2, 0x40a00000
	v_mov_b32_e32 v19, 0x4280a2ba
	v_div_scale_f32 v39, s[0:1], v8, v8, s2
	v_fmac_f32_e32 v28, 0, v35
	v_mov_b32_e32 v20, 0x44561b86
	v_fmac_f32_e32 v19, 0, v35
	v_fmac_f32_e32 v29, v35, v28
	v_mov_b32_e32 v21, 0x4572a66e
	v_fmac_f32_e32 v20, v35, v19
	v_fmac_f32_e32 v30, v35, v29
	v_mov_b32_e32 v23, 0x45e243be
	v_rcp_f32_e32 v38, v18
	v_fmac_f32_e32 v21, v35, v20
	v_fmac_f32_e32 v31, v35, v30
	v_mov_b32_e32 v24, 0x45b955d1
	v_fma_f32 v40, -v18, v38, 1.0
	v_fmac_f32_e32 v38, v40, v38
	v_mul_f32_e32 v40, v22, v38
	v_fma_f32 v41, -v18, v40, v22
	v_fmac_f32_e32 v40, v41, v38
	v_fma_f32 v18, -v18, v40, v22
	v_div_fmas_f32 v18, v18, v38, v40
	v_fmac_f32_e32 v23, v35, v21
	v_fmac_f32_e32 v32, v35, v31
	v_mov_b32_e32 v25, 0x4500e17e
	v_fmac_f32_e32 v24, v35, v23
	v_fmac_f32_e32 v33, v35, v32
	v_mov_b32_e32 v14, 0xc0c19ac7
	v_mov_b32_e32 v26, 0x43720178
	v_fmac_f32_e32 v25, v35, v24
	v_fmac_f32_e32 v34, v35, v33
	;; [unrolled: 1-line block ×4, first 2 shown]
	v_div_scale_f32 v19, s[0:1], v26, v26, v14
	v_div_scale_f32 v21, s[0:1], v14, v26, v14
	v_div_fixup_f32 v16, v18, v16, v17
	v_div_scale_f32 v18, vcc, s2, v8, s2
	v_rcp_f32_e32 v22, v39
	v_mul_f32_e32 v27, v11, v11
	v_mov_b32_e32 v20, 0xbab64f3b
	v_fmac_f32_e32 v36, 0xb94c1982, v27
	v_fma_f32 v25, -v39, v22, 1.0
	v_fmac_f32_e32 v22, v25, v22
	v_fmac_f32_e32 v20, 0x37d75334, v27
	v_mov_b32_e32 v23, 0x3d2aabf7
	v_fma_f32 v17, v27, v36, v37
	v_fma_f32 v20, v27, v20, v23
	v_mov_b32_e32 v24, 0xbf000004
	v_mul_f32_e32 v17, v27, v17
	v_fma_f32 v20, v27, v20, v24
	v_fmac_f32_e32 v11, v11, v17
	v_mul_f32_e32 v25, v18, v22
	v_fma_f32 v28, -v39, v25, v18
	v_fmac_f32_e32 v25, v28, v22
	v_rcp_f32_e32 v28, v19
	v_fma_f32 v18, -v39, v25, v18
	v_div_fmas_f32 v18, v18, v22, v25
	s_mov_b64 vcc, s[0:1]
	v_fma_f32 v22, -v19, v28, 1.0
	v_fmac_f32_e32 v28, v22, v28
	v_mul_f32_e32 v22, v21, v28
	v_fma_f32 v25, -v19, v22, v21
	v_fmac_f32_e32 v22, v25, v28
	v_fma_f32 v19, -v19, v22, v21
	v_div_fmas_f32 v19, v19, v28, v22
	v_and_b32_e32 v21, 1, v10
	v_lshlrev_b32_e32 v10, 30, v10
	v_fma_f32 v20, v27, v20, 1.0
	v_cmp_eq_u32_e32 vcc, 0, v21
	v_and_b32_e32 v10, 0x80000000, v10
	v_cndmask_b32_e32 v11, v20, v11, vcc
	v_xor_b32_e32 v9, v9, v10
	s_movk_i32 s0, 0x1f8
	v_xor_b32_e32 v9, v9, v11
	v_mov_b32_e32 v10, 0x7fc00000
	v_cmp_class_f32_e64 vcc, v6, s0
	v_cndmask_b32_e32 v6, v10, v9, vcc
	v_div_fixup_f32 v9, v18, v8, s2
	v_mov_b32_e32 v15, 0x3c0881c4
	v_mov_b32_e32 v17, 0xbab64f3b
	v_div_fixup_f32 v11, v19, v26, v14
	v_mul_f32_e32 v9, v9, v11
	v_mul_f32_e32 v11, v13, v13
	v_fmac_f32_e32 v15, 0xb94c1982, v11
	v_fmac_f32_e32 v37, v11, v15
	v_fmac_f32_e32 v17, 0x37d75334, v11
	v_mul_f32_e32 v14, v11, v37
	v_fmac_f32_e32 v23, v11, v17
	v_fmac_f32_e32 v13, v13, v14
	;; [unrolled: 1-line block ×3, first 2 shown]
	v_and_b32_e32 v14, 1, v12
	v_fma_f32 v11, v11, v24, 1.0
	v_cmp_eq_u32_e64 s[0:1], 0, v14
	v_lshlrev_b32_e32 v12, 30, v12
	v_cndmask_b32_e64 v11, -v13, v11, s[0:1]
	v_and_b32_e32 v12, 0x80000000, v12
	v_xor_b32_e32 v11, v12, v11
	s_mov_b32 s0, 0xf800000
	v_cndmask_b32_e32 v10, v10, v11, vcc
	v_mul_f32_e32 v11, 0x4f800000, v8
	v_cmp_gt_f32_e32 vcc, s0, v8
	v_cndmask_b32_e32 v8, v8, v11, vcc
	v_sqrt_f32_e32 v11, v8
	v_mul_f32_e32 v9, v9, v10
	v_fmac_f32_e32 v9, v16, v6
	v_mul_f32_e32 v6, 0x3f4c422a, v9
	v_add_u32_e32 v9, -1, v11
	v_fma_f32 v10, -v9, v11, v8
	v_cmp_ge_f32_e64 s[0:1], 0, v10
	v_add_u32_e32 v10, 1, v11
	v_cndmask_b32_e64 v9, v11, v9, s[0:1]
	v_fma_f32 v11, -v10, v11, v8
	v_cmp_lt_f32_e64 s[0:1], 0, v11
	v_cndmask_b32_e64 v9, v9, v10, s[0:1]
	v_mul_f32_e32 v10, 0x37800000, v9
	v_cndmask_b32_e32 v9, v9, v10, vcc
	v_mov_b32_e32 v10, 0x260
	v_cmp_class_f32_e32 vcc, v8, v10
	v_cndmask_b32_e32 v8, v9, v8, vcc
	v_div_scale_f32 v9, s[0:1], v8, v8, v6
	v_div_scale_f32 v10, vcc, v6, v8, v6
	v_rcp_f32_e32 v11, v9
	v_fma_f32 v12, -v9, v11, 1.0
	v_fmac_f32_e32 v11, v12, v11
	v_mul_f32_e32 v12, v10, v11
	v_fma_f32 v13, -v9, v12, v10
	v_fmac_f32_e32 v12, v13, v11
	v_fma_f32 v9, -v9, v12, v10
	v_div_fmas_f32 v9, v9, v11, v12
	v_div_fixup_f32 v6, v9, v8, v6
.LBB19_112:
	s_or_b64 exec, exec, s[6:7]
	global_load_dword v8, v7, s[10:11]
	s_mov_b32 s0, 0x40a00000
                                        ; implicit-def: $vgpr7
	s_waitcnt vmcnt(0)
	v_cmp_ge_f32_e32 vcc, s0, v8
	s_and_saveexec_b64 s[0:1], vcc
	s_xor_b64 s[2:3], exec, s[0:1]
	s_cbranch_execz .LBB19_122
; %bb.113:
	v_cmp_neq_f32_e32 vcc, 0, v8
	v_mov_b32_e32 v7, 0xff800000
	s_and_saveexec_b64 s[4:5], vcc
	s_cbranch_execz .LBB19_121
; %bb.114:
	v_cmp_ngt_f32_e32 vcc, 0, v8
	v_mov_b32_e32 v7, 0x7fc00000
	s_and_saveexec_b64 s[6:7], vcc
	s_cbranch_execz .LBB19_120
; %bb.115:
	v_mul_f32_e32 v7, v8, v8
	s_mov_b32 s0, 0x3727c5ac
	v_mul_f32_e32 v10, 0, v7
	v_cmp_ngt_f32_e32 vcc, s0, v8
                                        ; implicit-def: $vgpr9
	s_and_saveexec_b64 s[0:1], vcc
	s_xor_b64 s[0:1], exec, s[0:1]
	s_cbranch_execz .LBB19_117
; %bb.116:
	v_add_f32_e32 v9, 0xcf8ee29d, v10
	v_mov_b32_e32 v11, 0x53e3ba8e
	v_fmac_f32_e32 v11, v7, v9
	v_mov_b32_e32 v9, 0xd762b0a7
	v_fmac_f32_e32 v9, v7, v11
	v_add_f32_e32 v11, 0x43f9c815, v10
	v_mov_b32_e32 v12, 0x4829b65a
	v_fmac_f32_e32 v12, v7, v11
	v_mov_b32_e32 v11, 0x4c38c9a1
	v_fmac_f32_e32 v11, v7, v12
	;; [unrolled: 2-line block ×8, first 2 shown]
	v_add_f32_e32 v9, 0xc0b90fdc, v7
	v_add_f32_e32 v13, 0xc1f3c525, v7
	v_mul_f32_e32 v9, v9, v13
	v_mul_f32_e32 v9, v9, v11
	v_div_scale_f32 v11, s[12:13], v12, v12, v9
	v_div_scale_f32 v13, vcc, v9, v12, v9
	v_rcp_f32_e32 v14, v11
	v_fma_f32 v15, -v11, v14, 1.0
	v_fmac_f32_e32 v14, v15, v14
	v_mul_f32_e32 v15, v13, v14
	v_fma_f32 v16, -v11, v15, v13
	v_fmac_f32_e32 v15, v16, v14
	v_fma_f32 v11, -v11, v15, v13
	v_div_fmas_f32 v11, v11, v14, v15
	v_div_fixup_f32 v9, v11, v12, v9
.LBB19_117:
	s_andn2_saveexec_b64 s[0:1], s[0:1]
; %bb.118:
	s_mov_b32 s12, 0xbe800000
	v_fma_f32 v9, v7, s12, 1.0
; %bb.119:
	s_or_b64 exec, exec, s[0:1]
	v_add_f32_e32 v11, 0x4673a1bf, v10
	v_mov_b32_e32 v12, 0xcb5fc0fa
	v_fmac_f32_e32 v12, v7, v11
	v_mov_b32_e32 v11, 0x4fa1fbc8
	v_fmac_f32_e32 v11, v7, v12
	;; [unrolled: 2-line block ×6, first 2 shown]
	v_add_f32_e32 v10, 0x44822913, v10
	v_mov_b32_e32 v12, 0x4918dbb5
	v_fmac_f32_e32 v12, v7, v10
	v_mov_b32_e32 v10, 0x4d803b1b
	v_fmac_f32_e32 v10, v7, v12
	;; [unrolled: 2-line block ×7, first 2 shown]
	v_div_scale_f32 v7, s[0:1], v10, v10, v12
	v_div_scale_f32 v11, vcc, v12, v10, v12
	s_mov_b32 s0, 0x800000
	v_rcp_f32_e32 v13, v7
	v_fma_f32 v14, -v7, v13, 1.0
	v_fmac_f32_e32 v13, v14, v13
	v_mul_f32_e32 v14, v11, v13
	v_fma_f32 v15, -v7, v14, v11
	v_fmac_f32_e32 v14, v15, v13
	v_fma_f32 v7, -v7, v14, v11
	v_div_fmas_f32 v7, v7, v13, v14
	v_cmp_gt_f32_e32 vcc, s0, v8
	v_cndmask_b32_e64 v11, 0, 32, vcc
	v_ldexp_f32 v8, v8, v11
	v_log_f32_e32 v8, v8
	s_mov_b32 s0, 0x3f317217
	v_mul_f32_e32 v11, 0x3f317217, v8
	v_fma_f32 v11, v8, s0, -v11
	v_fmac_f32_e32 v11, 0x3377d1cf, v8
	s_mov_b32 s0, 0x7f800000
	v_fmac_f32_e32 v11, 0x3f317217, v8
	v_cmp_lt_f32_e64 s[0:1], |v8|, s0
	v_cndmask_b32_e64 v8, v8, v11, s[0:1]
	v_div_fixup_f32 v7, v7, v10, v12
	v_mov_b32_e32 v10, 0x41b17218
	v_cndmask_b32_e32 v10, 0, v10, vcc
	v_sub_f32_e32 v8, v8, v10
	v_mul_f32_e32 v8, 0x3f22f983, v8
	v_fmac_f32_e32 v7, v8, v9
.LBB19_120:
	s_or_b64 exec, exec, s[6:7]
.LBB19_121:
	s_or_b64 exec, exec, s[4:5]
                                        ; implicit-def: $vgpr8
.LBB19_122:
	s_andn2_saveexec_b64 s[6:7], s[2:3]
	s_cbranch_execz .LBB19_132
; %bb.123:
	v_add_f32_e32 v7, 0xbf490fdb, v8
	v_and_b32_e32 v9, 0x7fffffff, v7
	s_brev_b32 s0, 18
	v_cmp_nlt_f32_e64 s[12:13], |v7|, s0
	v_lshrrev_b32_e32 v14, 23, v9
                                        ; implicit-def: $vgpr10
                                        ; implicit-def: $vgpr11
	s_and_saveexec_b64 s[0:1], s[12:13]
	s_xor_b64 s[14:15], exec, s[0:1]
	s_cbranch_execz .LBB19_125
; %bb.124:
	v_and_b32_e32 v10, 0x7fffff, v9
	v_or_b32_e32 v13, 0x800000, v10
	s_mov_b32 s0, 0xfe5163ab
	v_mad_u64_u32 v[10:11], s[0:1], v13, s0, 0
	v_mov_b32_e32 v12, 0
	s_mov_b32 s0, 0x3c439041
	v_mad_u64_u32 v[15:16], s[0:1], v13, s0, v[11:12]
	s_mov_b32 s0, 0xdb629599
	v_add_u32_e32 v20, 0xffffff88, v14
	v_mov_b32_e32 v11, v16
	v_mad_u64_u32 v[16:17], s[0:1], v13, s0, v[11:12]
	s_mov_b32 s0, 0xf534ddc0
	v_not_b32_e32 v21, 63
	v_mov_b32_e32 v11, v17
	v_mad_u64_u32 v[17:18], s[0:1], v13, s0, v[11:12]
	s_mov_b32 s0, 0xfc2757d1
	v_cmp_lt_u32_e32 vcc, 63, v20
	v_mov_b32_e32 v11, v18
	v_mad_u64_u32 v[18:19], s[0:1], v13, s0, v[11:12]
	v_cndmask_b32_e32 v11, 0, v21, vcc
	v_add_u32_e32 v21, v11, v20
	v_mov_b32_e32 v11, v19
	s_mov_b32 s0, 0x4e441529
	v_mad_u64_u32 v[19:20], s[0:1], v13, s0, v[11:12]
	v_not_b32_e32 v22, 31
	v_cmp_lt_u32_e64 s[0:1], 31, v21
	v_cndmask_b32_e64 v11, 0, v22, s[0:1]
	v_add_u32_e32 v21, v11, v21
	v_mov_b32_e32 v11, v20
	s_mov_b32 s2, 0xa2f9836e
	v_mad_u64_u32 v[11:12], s[2:3], v13, s2, v[11:12]
	v_cmp_lt_u32_e64 s[2:3], 31, v21
	v_cndmask_b32_e64 v13, 0, v22, s[2:3]
	v_cndmask_b32_e32 v20, v19, v17, vcc
	v_cndmask_b32_e32 v11, v11, v18, vcc
	v_cndmask_b32_e32 v12, v12, v19, vcc
	v_add_u32_e32 v13, v13, v21
	v_cndmask_b32_e64 v21, v11, v20, s[0:1]
	v_cndmask_b32_e64 v11, v12, v11, s[0:1]
	v_cndmask_b32_e32 v12, v18, v16, vcc
	v_cndmask_b32_e64 v18, v20, v12, s[0:1]
	v_cndmask_b32_e64 v11, v11, v21, s[2:3]
	v_cndmask_b32_e64 v19, v21, v18, s[2:3]
	v_sub_u32_e32 v20, 32, v13
	v_alignbit_b32 v21, v11, v19, v20
	v_cmp_eq_u32_e64 s[4:5], 0, v13
	v_cndmask_b32_e64 v13, v21, v11, s[4:5]
	v_cndmask_b32_e32 v11, v17, v15, vcc
	v_cndmask_b32_e64 v12, v12, v11, s[0:1]
	v_cndmask_b32_e64 v15, v18, v12, s[2:3]
	v_alignbit_b32 v17, v19, v15, v20
	v_cndmask_b32_e32 v10, v16, v10, vcc
	v_cndmask_b32_e64 v17, v17, v19, s[4:5]
	v_bfe_u32 v21, v13, 29, 1
	v_cndmask_b32_e64 v10, v11, v10, s[0:1]
	v_alignbit_b32 v18, v13, v17, 30
	v_sub_u32_e32 v22, 0, v21
	v_cndmask_b32_e64 v10, v12, v10, s[2:3]
	v_xor_b32_e32 v18, v18, v22
	v_alignbit_b32 v11, v15, v10, v20
	v_cndmask_b32_e64 v11, v11, v15, s[4:5]
	v_ffbh_u32_e32 v15, v18
	v_alignbit_b32 v12, v17, v11, 30
	v_min_u32_e32 v15, 32, v15
	v_alignbit_b32 v10, v11, v10, 30
	v_xor_b32_e32 v12, v12, v22
	v_sub_u32_e32 v16, 31, v15
	v_xor_b32_e32 v10, v10, v22
	v_alignbit_b32 v17, v18, v12, v16
	v_alignbit_b32 v10, v12, v10, v16
	;; [unrolled: 1-line block ×3, first 2 shown]
	v_ffbh_u32_e32 v12, v11
	v_min_u32_e32 v12, 32, v12
	v_lshrrev_b32_e32 v19, 29, v13
	v_not_b32_e32 v16, v12
	v_alignbit_b32 v10, v11, v10, v16
	v_lshlrev_b32_e32 v11, 31, v19
	v_or_b32_e32 v16, 0x33000000, v11
	v_add_lshl_u32 v12, v12, v15, 23
	v_lshrrev_b32_e32 v10, 9, v10
	v_sub_u32_e32 v12, v16, v12
	v_or_b32_e32 v11, 0.5, v11
	v_lshlrev_b32_e32 v15, 23, v15
	v_or_b32_e32 v10, v12, v10
	v_lshrrev_b32_e32 v12, 9, v17
	v_sub_u32_e32 v11, v11, v15
	v_or_b32_e32 v11, v12, v11
	s_mov_b32 s0, 0x3fc90fda
	v_mul_f32_e32 v12, 0x3fc90fda, v11
	v_fma_f32 v15, v11, s0, -v12
	v_fmac_f32_e32 v15, 0x33a22168, v11
	v_fmac_f32_e32 v15, 0x3fc90fda, v10
	v_lshrrev_b32_e32 v10, 30, v13
	v_add_f32_e32 v11, v12, v15
	v_add_u32_e32 v10, v21, v10
	s_andn2_saveexec_b64 s[0:1], s[14:15]
	s_cbranch_execz .LBB19_127
	s_branch .LBB19_126
.LBB19_125:
	s_andn2_saveexec_b64 s[0:1], s[14:15]
	s_cbranch_execz .LBB19_127
.LBB19_126:
	s_mov_b32 s2, 0x3f22f983
	v_mul_f32_e64 v10, |v7|, s2
	v_rndne_f32_e32 v12, v10
	s_mov_b32 s2, 0xbfc90fda
	v_cvt_i32_f32_e32 v10, v12
	v_fma_f32 v11, v12, s2, |v7|
	v_fmac_f32_e32 v11, 0xb3a22168, v12
	v_fmac_f32_e32 v11, 0xa7c234c4, v12
.LBB19_127:
	s_or_b64 exec, exec, s[0:1]
                                        ; implicit-def: $vgpr12
                                        ; implicit-def: $vgpr13
	s_and_saveexec_b64 s[0:1], s[12:13]
	s_xor_b64 s[12:13], exec, s[0:1]
	s_cbranch_execz .LBB19_129
; %bb.128:
	v_and_b32_e32 v12, 0x7fffff, v9
	v_or_b32_e32 v21, 0x800000, v12
	s_mov_b32 s0, 0xfe5163ab
	v_mad_u64_u32 v[12:13], s[0:1], v21, s0, 0
	v_mov_b32_e32 v16, 0
	s_mov_b32 s0, 0x3c439041
	v_mov_b32_e32 v15, v13
	v_mad_u64_u32 v[17:18], s[0:1], v21, s0, v[15:16]
	s_mov_b32 s0, 0xdb629599
	v_add_u32_e32 v22, 0xffffff88, v14
	v_mov_b32_e32 v15, v18
	v_mad_u64_u32 v[18:19], s[0:1], v21, s0, v[15:16]
	s_mov_b32 s0, 0xf534ddc0
	v_not_b32_e32 v23, 63
	v_mov_b32_e32 v15, v19
	v_mad_u64_u32 v[19:20], s[0:1], v21, s0, v[15:16]
	s_mov_b32 s0, 0xfc2757d1
	v_cmp_lt_u32_e32 vcc, 63, v22
	v_mov_b32_e32 v15, v20
	v_mad_u64_u32 v[13:14], s[0:1], v21, s0, v[15:16]
	v_cndmask_b32_e32 v15, 0, v23, vcc
	v_add_u32_e32 v20, v15, v22
	v_mov_b32_e32 v15, v14
	s_mov_b32 s0, 0x4e441529
	v_mad_u64_u32 v[14:15], s[0:1], v21, s0, v[15:16]
	v_not_b32_e32 v22, 31
	v_cmp_lt_u32_e64 s[0:1], 31, v20
	s_mov_b32 s2, 0xa2f9836e
	v_cndmask_b32_e64 v23, 0, v22, s[0:1]
	v_mad_u64_u32 v[15:16], s[2:3], v21, s2, v[15:16]
	v_add_u32_e32 v20, v23, v20
	v_cmp_lt_u32_e64 s[2:3], 31, v20
	v_cndmask_b32_e64 v21, 0, v22, s[2:3]
	v_add_u32_e32 v20, v21, v20
	v_cndmask_b32_e32 v21, v14, v19, vcc
	v_cndmask_b32_e32 v15, v15, v13, vcc
	v_cndmask_b32_e32 v14, v16, v14, vcc
	v_cndmask_b32_e32 v13, v13, v18, vcc
	v_cndmask_b32_e64 v22, v15, v21, s[0:1]
	v_cndmask_b32_e64 v14, v14, v15, s[0:1]
	;; [unrolled: 1-line block ×3, first 2 shown]
	v_cndmask_b32_e32 v17, v19, v17, vcc
	v_cndmask_b32_e64 v14, v14, v22, s[2:3]
	v_cndmask_b32_e64 v16, v22, v15, s[2:3]
	v_sub_u32_e32 v21, 32, v20
	v_cndmask_b32_e64 v13, v13, v17, s[0:1]
	v_alignbit_b32 v22, v14, v16, v21
	v_cmp_eq_u32_e64 s[4:5], 0, v20
	v_cndmask_b32_e64 v15, v15, v13, s[2:3]
	v_cndmask_b32_e32 v12, v18, v12, vcc
	v_cndmask_b32_e64 v14, v22, v14, s[4:5]
	v_alignbit_b32 v19, v16, v15, v21
	v_cndmask_b32_e64 v12, v17, v12, s[0:1]
	v_cndmask_b32_e64 v16, v19, v16, s[4:5]
	v_bfe_u32 v22, v14, 29, 1
	v_cndmask_b32_e64 v12, v13, v12, s[2:3]
	v_alignbit_b32 v19, v14, v16, 30
	v_sub_u32_e32 v23, 0, v22
	v_alignbit_b32 v13, v15, v12, v21
	v_xor_b32_e32 v19, v19, v23
	v_cndmask_b32_e64 v13, v13, v15, s[4:5]
	v_alignbit_b32 v15, v16, v13, 30
	v_ffbh_u32_e32 v16, v19
	v_min_u32_e32 v16, 32, v16
	v_alignbit_b32 v12, v13, v12, 30
	v_xor_b32_e32 v15, v15, v23
	v_sub_u32_e32 v17, 31, v16
	v_xor_b32_e32 v12, v12, v23
	v_alignbit_b32 v18, v19, v15, v17
	v_alignbit_b32 v12, v15, v12, v17
	;; [unrolled: 1-line block ×3, first 2 shown]
	v_ffbh_u32_e32 v15, v13
	v_min_u32_e32 v15, 32, v15
	v_lshrrev_b32_e32 v20, 29, v14
	v_not_b32_e32 v17, v15
	v_alignbit_b32 v12, v13, v12, v17
	v_lshlrev_b32_e32 v13, 31, v20
	v_or_b32_e32 v17, 0x33000000, v13
	v_add_lshl_u32 v15, v15, v16, 23
	v_lshrrev_b32_e32 v12, 9, v12
	v_sub_u32_e32 v15, v17, v15
	v_or_b32_e32 v13, 0.5, v13
	v_lshlrev_b32_e32 v16, 23, v16
	v_or_b32_e32 v12, v15, v12
	v_lshrrev_b32_e32 v15, 9, v18
	v_sub_u32_e32 v13, v13, v16
	v_or_b32_e32 v13, v15, v13
	s_mov_b32 s0, 0x3fc90fda
	v_mul_f32_e32 v15, 0x3fc90fda, v13
	v_fma_f32 v16, v13, s0, -v15
	v_fmac_f32_e32 v16, 0x33a22168, v13
	v_fmac_f32_e32 v16, 0x3fc90fda, v12
	v_lshrrev_b32_e32 v12, 30, v14
	v_add_f32_e32 v13, v15, v16
	v_add_u32_e32 v12, v22, v12
	s_andn2_saveexec_b64 s[0:1], s[12:13]
	s_cbranch_execnz .LBB19_130
	s_branch .LBB19_131
.LBB19_129:
	s_andn2_saveexec_b64 s[0:1], s[12:13]
	s_cbranch_execz .LBB19_131
.LBB19_130:
	s_mov_b32 s2, 0x3f22f983
	v_mul_f32_e64 v12, |v7|, s2
	v_rndne_f32_e32 v14, v12
	s_mov_b32 s2, 0xbfc90fda
	v_cvt_i32_f32_e32 v12, v14
	v_fma_f32 v13, v14, s2, |v7|
	v_fmac_f32_e32 v13, 0xb3a22168, v14
	v_fmac_f32_e32 v13, 0xa7c234c4, v14
.LBB19_131:
	s_or_b64 exec, exec, s[0:1]
	v_mul_f32_e32 v15, v8, v8
	s_mov_b32 s2, 0x41c80000
	v_div_scale_f32 v14, s[0:1], v15, v15, s2
	v_div_scale_f32 v16, vcc, s2, v15, s2
	v_mov_b32_e32 v17, 0x3a50e985
	v_mov_b32_e32 v19, 0x3da9a586
	;; [unrolled: 1-line block ×12, first 2 shown]
	v_rcp_f32_e32 v18, v14
	v_mov_b32_e32 v32, 0xc331ae61
	v_mov_b32_e32 v33, 0xc31313d7
	;; [unrolled: 1-line block ×3, first 2 shown]
	v_fma_f32 v22, -v14, v18, 1.0
	v_fmac_f32_e32 v18, v22, v18
	v_mul_f32_e32 v22, v16, v18
	v_fma_f32 v23, -v14, v22, v16
	v_fmac_f32_e32 v22, v23, v18
	v_fma_f32 v14, -v14, v22, v16
	v_div_fmas_f32 v16, v14, v18, v22
	v_mov_b32_e32 v23, 0x3a725406
	v_mov_b32_e32 v18, 0x410bf463
	;; [unrolled: 1-line block ×6, first 2 shown]
	v_xor_b32_e32 v9, v9, v7
	v_div_fixup_f32 v35, v16, v15, s2
	v_fmac_f32_e32 v17, 0, v35
	v_fmac_f32_e32 v23, 0, v35
	;; [unrolled: 1-line block ×12, first 2 shown]
	v_fma_f32 v18, v35, v28, 1.0
	v_fma_f32 v19, v35, v22, 1.0
	v_div_scale_f32 v20, s[0:1], v18, v18, v19
	v_div_scale_f32 v24, vcc, v19, v18, v19
	s_mov_b32 s2, 0x40a00000
	v_mov_b32_e32 v21, 0x4280a2ba
	v_div_scale_f32 v39, s[0:1], v8, v8, s2
	v_fmac_f32_e32 v14, 0, v35
	v_mov_b32_e32 v22, 0x44561b86
	v_fmac_f32_e32 v21, 0, v35
	v_fmac_f32_e32 v29, v35, v14
	v_mov_b32_e32 v23, 0x4572a66e
	v_fmac_f32_e32 v22, v35, v21
	v_fmac_f32_e32 v30, v35, v29
	v_mov_b32_e32 v25, 0x45e243be
	v_rcp_f32_e32 v38, v20
	v_fmac_f32_e32 v23, v35, v22
	v_fmac_f32_e32 v31, v35, v30
	v_mov_b32_e32 v26, 0x45b955d1
	v_fma_f32 v40, -v20, v38, 1.0
	v_fmac_f32_e32 v38, v40, v38
	v_mul_f32_e32 v40, v24, v38
	v_fma_f32 v41, -v20, v40, v24
	v_fmac_f32_e32 v40, v41, v38
	v_fma_f32 v20, -v20, v40, v24
	v_div_fmas_f32 v20, v20, v38, v40
	v_fmac_f32_e32 v25, v35, v23
	v_fmac_f32_e32 v32, v35, v31
	v_mov_b32_e32 v27, 0x4500e17e
	v_fmac_f32_e32 v26, v35, v25
	v_fmac_f32_e32 v33, v35, v32
	v_mov_b32_e32 v15, 0xc0c19ac7
	v_mov_b32_e32 v16, 0x43720178
	v_fmac_f32_e32 v27, v35, v26
	v_fmac_f32_e32 v34, v35, v33
	;; [unrolled: 1-line block ×4, first 2 shown]
	v_rcp_f32_e32 v23, v39
	v_mul_f32_e32 v28, v11, v11
	v_mov_b32_e32 v21, 0xbab64f3b
	v_fmac_f32_e32 v36, 0xb94c1982, v28
	v_div_fixup_f32 v14, v20, v18, v19
	v_div_scale_f32 v19, vcc, s2, v8, s2
	v_div_scale_f32 v20, s[0:1], v16, v16, v15
	v_div_scale_f32 v22, s[0:1], v15, v16, v15
	v_fma_f32 v26, -v39, v23, 1.0
	v_fmac_f32_e32 v23, v26, v23
	v_fmac_f32_e32 v21, 0x37d75334, v28
	v_mov_b32_e32 v24, 0x3d2aabf7
	v_fma_f32 v18, v28, v36, v37
	v_fma_f32 v21, v28, v21, v24
	v_mov_b32_e32 v25, 0xbf000004
	v_mul_f32_e32 v18, v28, v18
	v_fma_f32 v21, v28, v21, v25
	v_fmac_f32_e32 v11, v11, v18
	v_mul_f32_e32 v26, v19, v23
	v_fma_f32 v27, -v39, v26, v19
	v_fmac_f32_e32 v26, v27, v23
	v_rcp_f32_e32 v27, v20
	v_fma_f32 v19, -v39, v26, v19
	v_div_fmas_f32 v19, v19, v23, v26
	s_mov_b64 vcc, s[0:1]
	v_fma_f32 v23, -v20, v27, 1.0
	v_fmac_f32_e32 v27, v23, v27
	v_mul_f32_e32 v23, v22, v27
	v_fma_f32 v26, -v20, v23, v22
	v_fmac_f32_e32 v23, v26, v27
	v_fma_f32 v20, -v20, v23, v22
	v_div_fmas_f32 v20, v20, v27, v23
	v_and_b32_e32 v22, 1, v10
	v_lshlrev_b32_e32 v10, 30, v10
	v_fma_f32 v21, v28, v21, 1.0
	v_cmp_eq_u32_e32 vcc, 0, v22
	v_and_b32_e32 v10, 0x80000000, v10
	v_cndmask_b32_e32 v11, v21, v11, vcc
	v_xor_b32_e32 v9, v9, v10
	s_movk_i32 s0, 0x1f8
	v_xor_b32_e32 v9, v9, v11
	v_mov_b32_e32 v10, 0x7fc00000
	v_cmp_class_f32_e64 vcc, v7, s0
	v_cndmask_b32_e32 v7, v10, v9, vcc
	v_div_fixup_f32 v9, v19, v8, s2
	v_mov_b32_e32 v17, 0x3c0881c4
	v_mov_b32_e32 v18, 0xbab64f3b
	v_div_fixup_f32 v11, v20, v16, v15
	v_mul_f32_e32 v9, v9, v11
	v_mul_f32_e32 v11, v13, v13
	v_fmac_f32_e32 v17, 0xb94c1982, v11
	v_fmac_f32_e32 v37, v11, v17
	v_fmac_f32_e32 v18, 0x37d75334, v11
	v_mul_f32_e32 v15, v11, v37
	v_fmac_f32_e32 v24, v11, v18
	v_fmac_f32_e32 v13, v13, v15
	;; [unrolled: 1-line block ×3, first 2 shown]
	v_and_b32_e32 v15, 1, v12
	v_fma_f32 v11, v11, v25, 1.0
	v_cmp_eq_u32_e64 s[0:1], 0, v15
	v_lshlrev_b32_e32 v12, 30, v12
	v_cndmask_b32_e64 v11, -v13, v11, s[0:1]
	v_and_b32_e32 v12, 0x80000000, v12
	v_xor_b32_e32 v11, v12, v11
	s_mov_b32 s0, 0xf800000
	v_cndmask_b32_e32 v10, v10, v11, vcc
	v_mul_f32_e32 v11, 0x4f800000, v8
	v_cmp_gt_f32_e32 vcc, s0, v8
	v_cndmask_b32_e32 v8, v8, v11, vcc
	v_sqrt_f32_e32 v11, v8
	v_mul_f32_e32 v9, v9, v10
	v_fmac_f32_e32 v9, v14, v7
	v_mul_f32_e32 v7, 0x3f4c422a, v9
	v_add_u32_e32 v9, -1, v11
	v_fma_f32 v10, -v9, v11, v8
	v_cmp_ge_f32_e64 s[0:1], 0, v10
	v_add_u32_e32 v10, 1, v11
	v_cndmask_b32_e64 v9, v11, v9, s[0:1]
	v_fma_f32 v11, -v10, v11, v8
	v_cmp_lt_f32_e64 s[0:1], 0, v11
	v_cndmask_b32_e64 v9, v9, v10, s[0:1]
	v_mul_f32_e32 v10, 0x37800000, v9
	v_cndmask_b32_e32 v9, v9, v10, vcc
	v_mov_b32_e32 v10, 0x260
	v_cmp_class_f32_e32 vcc, v8, v10
	v_cndmask_b32_e32 v8, v9, v8, vcc
	v_div_scale_f32 v9, s[0:1], v8, v8, v7
	v_div_scale_f32 v10, vcc, v7, v8, v7
	v_rcp_f32_e32 v11, v9
	v_fma_f32 v12, -v9, v11, 1.0
	v_fmac_f32_e32 v11, v12, v11
	v_mul_f32_e32 v12, v10, v11
	v_fma_f32 v13, -v9, v12, v10
	v_fmac_f32_e32 v12, v13, v11
	v_fma_f32 v9, -v9, v12, v10
	v_div_fmas_f32 v9, v9, v11, v12
	v_div_fixup_f32 v7, v9, v8, v7
.LBB19_132:
	s_or_b64 exec, exec, s[6:7]
	global_load_dword v5, v5, s[10:11]
	s_mov_b32 s0, 0x40a00000
                                        ; implicit-def: $vgpr8
	s_waitcnt vmcnt(0)
	v_cmp_ge_f32_e32 vcc, s0, v5
	s_and_saveexec_b64 s[0:1], vcc
	s_xor_b64 s[2:3], exec, s[0:1]
	s_cbranch_execz .LBB19_142
; %bb.133:
	v_cmp_neq_f32_e32 vcc, 0, v5
	v_mov_b32_e32 v8, 0xff800000
	s_and_saveexec_b64 s[4:5], vcc
	s_cbranch_execz .LBB19_141
; %bb.134:
	v_cmp_ngt_f32_e32 vcc, 0, v5
	v_mov_b32_e32 v8, 0x7fc00000
	s_and_saveexec_b64 s[6:7], vcc
	s_cbranch_execz .LBB19_140
; %bb.135:
	v_mul_f32_e32 v8, v5, v5
	s_mov_b32 s0, 0x3727c5ac
	v_mul_f32_e32 v10, 0, v8
	v_cmp_ngt_f32_e32 vcc, s0, v5
                                        ; implicit-def: $vgpr9
	s_and_saveexec_b64 s[0:1], vcc
	s_xor_b64 s[0:1], exec, s[0:1]
	s_cbranch_execz .LBB19_137
; %bb.136:
	v_add_f32_e32 v9, 0xcf8ee29d, v10
	v_mov_b32_e32 v11, 0x53e3ba8e
	v_fmac_f32_e32 v11, v8, v9
	v_mov_b32_e32 v9, 0xd762b0a7
	v_fmac_f32_e32 v9, v8, v11
	v_add_f32_e32 v11, 0x43f9c815, v10
	v_mov_b32_e32 v12, 0x4829b65a
	v_fmac_f32_e32 v12, v8, v11
	v_mov_b32_e32 v11, 0x4c38c9a1
	v_fmac_f32_e32 v11, v8, v12
	;; [unrolled: 2-line block ×8, first 2 shown]
	v_add_f32_e32 v9, 0xc0b90fdc, v8
	v_add_f32_e32 v13, 0xc1f3c525, v8
	v_mul_f32_e32 v9, v9, v13
	v_mul_f32_e32 v9, v9, v11
	v_div_scale_f32 v11, s[10:11], v12, v12, v9
	v_div_scale_f32 v13, vcc, v9, v12, v9
	v_rcp_f32_e32 v14, v11
	v_fma_f32 v15, -v11, v14, 1.0
	v_fmac_f32_e32 v14, v15, v14
	v_mul_f32_e32 v15, v13, v14
	v_fma_f32 v16, -v11, v15, v13
	v_fmac_f32_e32 v15, v16, v14
	v_fma_f32 v11, -v11, v15, v13
	v_div_fmas_f32 v11, v11, v14, v15
	v_div_fixup_f32 v9, v11, v12, v9
.LBB19_137:
	s_andn2_saveexec_b64 s[0:1], s[0:1]
; %bb.138:
	s_mov_b32 s10, 0xbe800000
	v_fma_f32 v9, v8, s10, 1.0
; %bb.139:
	s_or_b64 exec, exec, s[0:1]
	v_add_f32_e32 v11, 0x4673a1bf, v10
	v_mov_b32_e32 v12, 0xcb5fc0fa
	v_fmac_f32_e32 v12, v8, v11
	v_mov_b32_e32 v11, 0x4fa1fbc8
	v_fmac_f32_e32 v11, v8, v12
	;; [unrolled: 2-line block ×6, first 2 shown]
	v_add_f32_e32 v10, 0x44822913, v10
	v_mov_b32_e32 v12, 0x4918dbb5
	v_fmac_f32_e32 v12, v8, v10
	v_mov_b32_e32 v10, 0x4d803b1b
	v_fmac_f32_e32 v10, v8, v12
	;; [unrolled: 2-line block ×7, first 2 shown]
	v_div_scale_f32 v8, s[0:1], v10, v10, v12
	v_div_scale_f32 v11, vcc, v12, v10, v12
	s_mov_b32 s0, 0x800000
	v_rcp_f32_e32 v13, v8
	v_fma_f32 v14, -v8, v13, 1.0
	v_fmac_f32_e32 v13, v14, v13
	v_mul_f32_e32 v14, v11, v13
	v_fma_f32 v15, -v8, v14, v11
	v_fmac_f32_e32 v14, v15, v13
	v_fma_f32 v8, -v8, v14, v11
	v_div_fmas_f32 v8, v8, v13, v14
	v_cmp_gt_f32_e32 vcc, s0, v5
	v_cndmask_b32_e64 v11, 0, 32, vcc
	v_ldexp_f32 v5, v5, v11
	v_log_f32_e32 v5, v5
	s_mov_b32 s0, 0x3f317217
	v_mul_f32_e32 v11, 0x3f317217, v5
	v_fma_f32 v11, v5, s0, -v11
	v_fmac_f32_e32 v11, 0x3377d1cf, v5
	s_mov_b32 s0, 0x7f800000
	v_fmac_f32_e32 v11, 0x3f317217, v5
	v_cmp_lt_f32_e64 s[0:1], |v5|, s0
	v_cndmask_b32_e64 v5, v5, v11, s[0:1]
	v_div_fixup_f32 v8, v8, v10, v12
	v_mov_b32_e32 v10, 0x41b17218
	v_cndmask_b32_e32 v10, 0, v10, vcc
	v_sub_f32_e32 v5, v5, v10
	v_mul_f32_e32 v5, 0x3f22f983, v5
	v_fmac_f32_e32 v8, v5, v9
.LBB19_140:
	s_or_b64 exec, exec, s[6:7]
.LBB19_141:
	s_or_b64 exec, exec, s[4:5]
                                        ; implicit-def: $vgpr5
.LBB19_142:
	s_andn2_saveexec_b64 s[6:7], s[2:3]
	s_cbranch_execz .LBB19_152
; %bb.143:
	v_add_f32_e32 v8, 0xbf490fdb, v5
	v_and_b32_e32 v9, 0x7fffffff, v8
	s_brev_b32 s0, 18
	v_cmp_nlt_f32_e64 s[10:11], |v8|, s0
	v_lshrrev_b32_e32 v14, 23, v9
                                        ; implicit-def: $vgpr10
                                        ; implicit-def: $vgpr11
	s_and_saveexec_b64 s[0:1], s[10:11]
	s_xor_b64 s[12:13], exec, s[0:1]
	s_cbranch_execz .LBB19_145
; %bb.144:
	v_and_b32_e32 v10, 0x7fffff, v9
	v_or_b32_e32 v13, 0x800000, v10
	s_mov_b32 s0, 0xfe5163ab
	v_mad_u64_u32 v[10:11], s[0:1], v13, s0, 0
	v_mov_b32_e32 v12, 0
	s_mov_b32 s0, 0x3c439041
	v_mad_u64_u32 v[15:16], s[0:1], v13, s0, v[11:12]
	s_mov_b32 s0, 0xdb629599
	v_add_u32_e32 v20, 0xffffff88, v14
	v_mov_b32_e32 v11, v16
	v_mad_u64_u32 v[16:17], s[0:1], v13, s0, v[11:12]
	s_mov_b32 s0, 0xf534ddc0
	v_not_b32_e32 v21, 63
	v_mov_b32_e32 v11, v17
	v_mad_u64_u32 v[17:18], s[0:1], v13, s0, v[11:12]
	s_mov_b32 s0, 0xfc2757d1
	v_cmp_lt_u32_e32 vcc, 63, v20
	v_mov_b32_e32 v11, v18
	v_mad_u64_u32 v[18:19], s[0:1], v13, s0, v[11:12]
	v_cndmask_b32_e32 v11, 0, v21, vcc
	v_add_u32_e32 v21, v11, v20
	v_mov_b32_e32 v11, v19
	s_mov_b32 s0, 0x4e441529
	v_mad_u64_u32 v[19:20], s[0:1], v13, s0, v[11:12]
	v_not_b32_e32 v22, 31
	v_cmp_lt_u32_e64 s[0:1], 31, v21
	v_cndmask_b32_e64 v11, 0, v22, s[0:1]
	v_add_u32_e32 v21, v11, v21
	v_mov_b32_e32 v11, v20
	s_mov_b32 s2, 0xa2f9836e
	v_mad_u64_u32 v[11:12], s[2:3], v13, s2, v[11:12]
	v_cmp_lt_u32_e64 s[2:3], 31, v21
	v_cndmask_b32_e64 v13, 0, v22, s[2:3]
	v_cndmask_b32_e32 v20, v19, v17, vcc
	v_cndmask_b32_e32 v11, v11, v18, vcc
	;; [unrolled: 1-line block ×3, first 2 shown]
	v_add_u32_e32 v13, v13, v21
	v_cndmask_b32_e64 v21, v11, v20, s[0:1]
	v_cndmask_b32_e64 v11, v12, v11, s[0:1]
	v_cndmask_b32_e32 v12, v18, v16, vcc
	v_cndmask_b32_e64 v18, v20, v12, s[0:1]
	v_cndmask_b32_e64 v11, v11, v21, s[2:3]
	;; [unrolled: 1-line block ×3, first 2 shown]
	v_sub_u32_e32 v20, 32, v13
	v_alignbit_b32 v21, v11, v19, v20
	v_cmp_eq_u32_e64 s[4:5], 0, v13
	v_cndmask_b32_e64 v13, v21, v11, s[4:5]
	v_cndmask_b32_e32 v11, v17, v15, vcc
	v_cndmask_b32_e64 v12, v12, v11, s[0:1]
	v_cndmask_b32_e64 v15, v18, v12, s[2:3]
	v_alignbit_b32 v17, v19, v15, v20
	v_cndmask_b32_e32 v10, v16, v10, vcc
	v_cndmask_b32_e64 v17, v17, v19, s[4:5]
	v_bfe_u32 v21, v13, 29, 1
	v_cndmask_b32_e64 v10, v11, v10, s[0:1]
	v_alignbit_b32 v18, v13, v17, 30
	v_sub_u32_e32 v22, 0, v21
	v_cndmask_b32_e64 v10, v12, v10, s[2:3]
	v_xor_b32_e32 v18, v18, v22
	v_alignbit_b32 v11, v15, v10, v20
	v_cndmask_b32_e64 v11, v11, v15, s[4:5]
	v_ffbh_u32_e32 v15, v18
	v_alignbit_b32 v12, v17, v11, 30
	v_min_u32_e32 v15, 32, v15
	v_alignbit_b32 v10, v11, v10, 30
	v_xor_b32_e32 v12, v12, v22
	v_sub_u32_e32 v16, 31, v15
	v_xor_b32_e32 v10, v10, v22
	v_alignbit_b32 v17, v18, v12, v16
	v_alignbit_b32 v10, v12, v10, v16
	;; [unrolled: 1-line block ×3, first 2 shown]
	v_ffbh_u32_e32 v12, v11
	v_min_u32_e32 v12, 32, v12
	v_lshrrev_b32_e32 v19, 29, v13
	v_not_b32_e32 v16, v12
	v_alignbit_b32 v10, v11, v10, v16
	v_lshlrev_b32_e32 v11, 31, v19
	v_or_b32_e32 v16, 0x33000000, v11
	v_add_lshl_u32 v12, v12, v15, 23
	v_lshrrev_b32_e32 v10, 9, v10
	v_sub_u32_e32 v12, v16, v12
	v_or_b32_e32 v11, 0.5, v11
	v_lshlrev_b32_e32 v15, 23, v15
	v_or_b32_e32 v10, v12, v10
	v_lshrrev_b32_e32 v12, 9, v17
	v_sub_u32_e32 v11, v11, v15
	v_or_b32_e32 v11, v12, v11
	s_mov_b32 s0, 0x3fc90fda
	v_mul_f32_e32 v12, 0x3fc90fda, v11
	v_fma_f32 v15, v11, s0, -v12
	v_fmac_f32_e32 v15, 0x33a22168, v11
	v_fmac_f32_e32 v15, 0x3fc90fda, v10
	v_lshrrev_b32_e32 v10, 30, v13
	v_add_f32_e32 v11, v12, v15
	v_add_u32_e32 v10, v21, v10
	s_andn2_saveexec_b64 s[0:1], s[12:13]
	s_cbranch_execz .LBB19_147
	s_branch .LBB19_146
.LBB19_145:
	s_andn2_saveexec_b64 s[0:1], s[12:13]
	s_cbranch_execz .LBB19_147
.LBB19_146:
	s_mov_b32 s2, 0x3f22f983
	v_mul_f32_e64 v10, |v8|, s2
	v_rndne_f32_e32 v12, v10
	s_mov_b32 s2, 0xbfc90fda
	v_cvt_i32_f32_e32 v10, v12
	v_fma_f32 v11, v12, s2, |v8|
	v_fmac_f32_e32 v11, 0xb3a22168, v12
	v_fmac_f32_e32 v11, 0xa7c234c4, v12
.LBB19_147:
	s_or_b64 exec, exec, s[0:1]
                                        ; implicit-def: $vgpr12
                                        ; implicit-def: $vgpr13
	s_and_saveexec_b64 s[0:1], s[10:11]
	s_xor_b64 s[10:11], exec, s[0:1]
	s_cbranch_execz .LBB19_149
; %bb.148:
	v_and_b32_e32 v12, 0x7fffff, v9
	v_or_b32_e32 v21, 0x800000, v12
	s_mov_b32 s0, 0xfe5163ab
	v_mad_u64_u32 v[12:13], s[0:1], v21, s0, 0
	v_mov_b32_e32 v16, 0
	s_mov_b32 s0, 0x3c439041
	v_mov_b32_e32 v15, v13
	v_mad_u64_u32 v[17:18], s[0:1], v21, s0, v[15:16]
	s_mov_b32 s0, 0xdb629599
	v_add_u32_e32 v22, 0xffffff88, v14
	v_mov_b32_e32 v15, v18
	v_mad_u64_u32 v[18:19], s[0:1], v21, s0, v[15:16]
	s_mov_b32 s0, 0xf534ddc0
	v_not_b32_e32 v23, 63
	v_mov_b32_e32 v15, v19
	v_mad_u64_u32 v[19:20], s[0:1], v21, s0, v[15:16]
	s_mov_b32 s0, 0xfc2757d1
	v_cmp_lt_u32_e32 vcc, 63, v22
	v_mov_b32_e32 v15, v20
	v_mad_u64_u32 v[13:14], s[0:1], v21, s0, v[15:16]
	v_cndmask_b32_e32 v15, 0, v23, vcc
	v_add_u32_e32 v20, v15, v22
	v_mov_b32_e32 v15, v14
	s_mov_b32 s0, 0x4e441529
	v_mad_u64_u32 v[14:15], s[0:1], v21, s0, v[15:16]
	v_not_b32_e32 v22, 31
	v_cmp_lt_u32_e64 s[0:1], 31, v20
	s_mov_b32 s2, 0xa2f9836e
	v_cndmask_b32_e64 v23, 0, v22, s[0:1]
	v_mad_u64_u32 v[15:16], s[2:3], v21, s2, v[15:16]
	v_add_u32_e32 v20, v23, v20
	v_cmp_lt_u32_e64 s[2:3], 31, v20
	v_cndmask_b32_e64 v21, 0, v22, s[2:3]
	v_add_u32_e32 v20, v21, v20
	v_cndmask_b32_e32 v21, v14, v19, vcc
	v_cndmask_b32_e32 v15, v15, v13, vcc
	v_cndmask_b32_e32 v14, v16, v14, vcc
	v_cndmask_b32_e32 v13, v13, v18, vcc
	v_cndmask_b32_e64 v22, v15, v21, s[0:1]
	v_cndmask_b32_e64 v14, v14, v15, s[0:1]
	;; [unrolled: 1-line block ×3, first 2 shown]
	v_cndmask_b32_e32 v17, v19, v17, vcc
	v_cndmask_b32_e64 v14, v14, v22, s[2:3]
	v_cndmask_b32_e64 v16, v22, v15, s[2:3]
	v_sub_u32_e32 v21, 32, v20
	v_cndmask_b32_e64 v13, v13, v17, s[0:1]
	v_alignbit_b32 v22, v14, v16, v21
	v_cmp_eq_u32_e64 s[4:5], 0, v20
	v_cndmask_b32_e64 v15, v15, v13, s[2:3]
	v_cndmask_b32_e32 v12, v18, v12, vcc
	v_cndmask_b32_e64 v14, v22, v14, s[4:5]
	v_alignbit_b32 v19, v16, v15, v21
	v_cndmask_b32_e64 v12, v17, v12, s[0:1]
	v_cndmask_b32_e64 v16, v19, v16, s[4:5]
	v_bfe_u32 v22, v14, 29, 1
	v_cndmask_b32_e64 v12, v13, v12, s[2:3]
	v_alignbit_b32 v19, v14, v16, 30
	v_sub_u32_e32 v23, 0, v22
	v_alignbit_b32 v13, v15, v12, v21
	v_xor_b32_e32 v19, v19, v23
	v_cndmask_b32_e64 v13, v13, v15, s[4:5]
	v_alignbit_b32 v15, v16, v13, 30
	v_ffbh_u32_e32 v16, v19
	v_min_u32_e32 v16, 32, v16
	v_alignbit_b32 v12, v13, v12, 30
	v_xor_b32_e32 v15, v15, v23
	v_sub_u32_e32 v17, 31, v16
	v_xor_b32_e32 v12, v12, v23
	v_alignbit_b32 v18, v19, v15, v17
	v_alignbit_b32 v12, v15, v12, v17
	;; [unrolled: 1-line block ×3, first 2 shown]
	v_ffbh_u32_e32 v15, v13
	v_min_u32_e32 v15, 32, v15
	v_lshrrev_b32_e32 v20, 29, v14
	v_not_b32_e32 v17, v15
	v_alignbit_b32 v12, v13, v12, v17
	v_lshlrev_b32_e32 v13, 31, v20
	v_or_b32_e32 v17, 0x33000000, v13
	v_add_lshl_u32 v15, v15, v16, 23
	v_lshrrev_b32_e32 v12, 9, v12
	v_sub_u32_e32 v15, v17, v15
	v_or_b32_e32 v13, 0.5, v13
	v_lshlrev_b32_e32 v16, 23, v16
	v_or_b32_e32 v12, v15, v12
	v_lshrrev_b32_e32 v15, 9, v18
	v_sub_u32_e32 v13, v13, v16
	v_or_b32_e32 v13, v15, v13
	s_mov_b32 s0, 0x3fc90fda
	v_mul_f32_e32 v15, 0x3fc90fda, v13
	v_fma_f32 v16, v13, s0, -v15
	v_fmac_f32_e32 v16, 0x33a22168, v13
	v_fmac_f32_e32 v16, 0x3fc90fda, v12
	v_lshrrev_b32_e32 v12, 30, v14
	v_add_f32_e32 v13, v15, v16
	v_add_u32_e32 v12, v22, v12
	s_andn2_saveexec_b64 s[0:1], s[10:11]
	s_cbranch_execnz .LBB19_150
	s_branch .LBB19_151
.LBB19_149:
	s_andn2_saveexec_b64 s[0:1], s[10:11]
	s_cbranch_execz .LBB19_151
.LBB19_150:
	s_mov_b32 s2, 0x3f22f983
	v_mul_f32_e64 v12, |v8|, s2
	v_rndne_f32_e32 v14, v12
	s_mov_b32 s2, 0xbfc90fda
	v_cvt_i32_f32_e32 v12, v14
	v_fma_f32 v13, v14, s2, |v8|
	v_fmac_f32_e32 v13, 0xb3a22168, v14
	v_fmac_f32_e32 v13, 0xa7c234c4, v14
.LBB19_151:
	s_or_b64 exec, exec, s[0:1]
	v_mul_f32_e32 v14, v5, v5
	s_mov_b32 s2, 0x41c80000
	v_div_scale_f32 v15, s[0:1], v14, v14, s2
	v_div_scale_f32 v16, vcc, s2, v14, s2
	v_mov_b32_e32 v17, 0x3a50e985
	v_mov_b32_e32 v19, 0x3da9a586
	;; [unrolled: 1-line block ×12, first 2 shown]
	v_rcp_f32_e32 v18, v15
	v_mov_b32_e32 v32, 0xc331ae61
	v_mov_b32_e32 v33, 0xc31313d7
	;; [unrolled: 1-line block ×3, first 2 shown]
	v_fma_f32 v22, -v15, v18, 1.0
	v_fmac_f32_e32 v18, v22, v18
	v_mul_f32_e32 v22, v16, v18
	v_fma_f32 v23, -v15, v22, v16
	v_fmac_f32_e32 v22, v23, v18
	v_fma_f32 v15, -v15, v22, v16
	v_div_fmas_f32 v15, v15, v18, v22
	v_mov_b32_e32 v22, 0x3a725406
	v_mov_b32_e32 v23, 0x3daf5e2d
	;; [unrolled: 1-line block ×6, first 2 shown]
	v_xor_b32_e32 v9, v9, v8
	v_mov_b32_e32 v35, 0x3c0881c4
	v_div_fixup_f32 v15, v15, v14, s2
	v_fmac_f32_e32 v17, 0, v15
	v_fmac_f32_e32 v22, 0, v15
	;; [unrolled: 1-line block ×12, first 2 shown]
	v_fma_f32 v16, v15, v27, 1.0
	v_fma_f32 v17, v15, v18, 1.0
	v_div_scale_f32 v18, s[0:1], v16, v16, v17
	v_div_scale_f32 v22, vcc, v17, v16, v17
	v_mov_b32_e32 v19, 0x4280a2ba
	s_mov_b32 s2, 0x40a00000
	v_fmac_f32_e32 v28, 0, v15
	v_mov_b32_e32 v20, 0x44561b86
	v_div_scale_f32 v39, s[0:1], v5, v5, s2
	v_fmac_f32_e32 v19, 0, v15
	v_fmac_f32_e32 v29, v15, v28
	v_mov_b32_e32 v21, 0x4572a66e
	v_fmac_f32_e32 v20, v15, v19
	v_fmac_f32_e32 v30, v15, v29
	v_mov_b32_e32 v23, 0x45e243be
	v_rcp_f32_e32 v38, v18
	v_fmac_f32_e32 v21, v15, v20
	v_fmac_f32_e32 v31, v15, v30
	v_mov_b32_e32 v24, 0x45b955d1
	v_fma_f32 v40, -v18, v38, 1.0
	v_fmac_f32_e32 v38, v40, v38
	v_mul_f32_e32 v40, v22, v38
	v_fma_f32 v41, -v18, v40, v22
	v_fmac_f32_e32 v40, v41, v38
	v_fma_f32 v18, -v18, v40, v22
	v_div_fmas_f32 v18, v18, v38, v40
	v_fmac_f32_e32 v23, v15, v21
	v_fmac_f32_e32 v32, v15, v31
	v_mov_b32_e32 v25, 0x4500e17e
	v_fmac_f32_e32 v24, v15, v23
	v_fmac_f32_e32 v33, v15, v32
	v_mov_b32_e32 v14, 0xc0c19ac7
	v_mov_b32_e32 v26, 0x43720178
	v_fmac_f32_e32 v25, v15, v24
	v_fmac_f32_e32 v34, v15, v33
	v_fmac_f32_e32 v26, v15, v25
	v_fmac_f32_e32 v14, v15, v34
	v_rcp_f32_e32 v21, v39
	v_mul_f32_e32 v27, v11, v11
	v_mov_b32_e32 v19, 0xbab64f3b
	v_fmac_f32_e32 v36, 0xb94c1982, v27
	v_div_fixup_f32 v15, v18, v16, v17
	v_div_scale_f32 v17, vcc, s2, v5, s2
	v_div_scale_f32 v18, s[0:1], v26, v26, v14
	v_div_scale_f32 v20, s[0:1], v14, v26, v14
	v_fma_f32 v24, -v39, v21, 1.0
	v_fmac_f32_e32 v21, v24, v21
	v_fmac_f32_e32 v19, 0x37d75334, v27
	v_mov_b32_e32 v22, 0x3d2aabf7
	v_fma_f32 v16, v27, v36, v37
	v_fma_f32 v19, v27, v19, v22
	v_mov_b32_e32 v23, 0xbf000004
	v_mul_f32_e32 v16, v27, v16
	v_fma_f32 v19, v27, v19, v23
	v_fmac_f32_e32 v11, v11, v16
	v_mul_f32_e32 v24, v17, v21
	v_fma_f32 v25, -v39, v24, v17
	v_fmac_f32_e32 v24, v25, v21
	v_rcp_f32_e32 v25, v18
	v_fma_f32 v17, -v39, v24, v17
	v_div_fmas_f32 v17, v17, v21, v24
	s_mov_b64 vcc, s[0:1]
	v_fma_f32 v21, -v18, v25, 1.0
	v_fmac_f32_e32 v25, v21, v25
	v_mul_f32_e32 v21, v20, v25
	v_fma_f32 v24, -v18, v21, v20
	v_fmac_f32_e32 v21, v24, v25
	v_fma_f32 v18, -v18, v21, v20
	v_div_fmas_f32 v18, v18, v25, v21
	v_and_b32_e32 v20, 1, v10
	v_lshlrev_b32_e32 v10, 30, v10
	v_fma_f32 v19, v27, v19, 1.0
	v_cmp_eq_u32_e32 vcc, 0, v20
	v_and_b32_e32 v10, 0x80000000, v10
	v_cndmask_b32_e32 v11, v19, v11, vcc
	v_xor_b32_e32 v9, v9, v10
	s_movk_i32 s0, 0x1f8
	v_xor_b32_e32 v9, v9, v11
	v_mov_b32_e32 v10, 0x7fc00000
	v_cmp_class_f32_e64 vcc, v8, s0
	v_cndmask_b32_e32 v8, v10, v9, vcc
	v_div_fixup_f32 v9, v17, v5, s2
	v_mov_b32_e32 v16, 0xbab64f3b
	v_div_fixup_f32 v11, v18, v26, v14
	v_mul_f32_e32 v9, v9, v11
	v_mul_f32_e32 v11, v13, v13
	v_fmac_f32_e32 v35, 0xb94c1982, v11
	v_fmac_f32_e32 v37, v11, v35
	;; [unrolled: 1-line block ×3, first 2 shown]
	v_mul_f32_e32 v14, v11, v37
	v_fmac_f32_e32 v22, v11, v16
	v_fmac_f32_e32 v13, v13, v14
	;; [unrolled: 1-line block ×3, first 2 shown]
	v_and_b32_e32 v14, 1, v12
	v_fma_f32 v11, v11, v23, 1.0
	v_cmp_eq_u32_e64 s[0:1], 0, v14
	v_lshlrev_b32_e32 v12, 30, v12
	v_cndmask_b32_e64 v11, -v13, v11, s[0:1]
	v_and_b32_e32 v12, 0x80000000, v12
	v_xor_b32_e32 v11, v12, v11
	s_mov_b32 s0, 0xf800000
	v_cndmask_b32_e32 v10, v10, v11, vcc
	v_mul_f32_e32 v11, 0x4f800000, v5
	v_cmp_gt_f32_e32 vcc, s0, v5
	v_cndmask_b32_e32 v5, v5, v11, vcc
	v_sqrt_f32_e32 v11, v5
	v_mul_f32_e32 v9, v9, v10
	v_fmac_f32_e32 v9, v15, v8
	v_mul_f32_e32 v8, 0x3f4c422a, v9
	v_add_u32_e32 v9, -1, v11
	v_fma_f32 v10, -v9, v11, v5
	v_cmp_ge_f32_e64 s[0:1], 0, v10
	v_add_u32_e32 v10, 1, v11
	v_cndmask_b32_e64 v9, v11, v9, s[0:1]
	v_fma_f32 v11, -v10, v11, v5
	v_cmp_lt_f32_e64 s[0:1], 0, v11
	v_cndmask_b32_e64 v9, v9, v10, s[0:1]
	v_mul_f32_e32 v10, 0x37800000, v9
	v_cndmask_b32_e32 v9, v9, v10, vcc
	v_mov_b32_e32 v10, 0x260
	v_cmp_class_f32_e32 vcc, v5, v10
	v_cndmask_b32_e32 v5, v9, v5, vcc
	v_div_scale_f32 v9, s[0:1], v5, v5, v8
	v_div_scale_f32 v10, vcc, v8, v5, v8
	v_rcp_f32_e32 v11, v9
	v_fma_f32 v12, -v9, v11, 1.0
	v_fmac_f32_e32 v11, v12, v11
	v_mul_f32_e32 v12, v10, v11
	v_fma_f32 v13, -v9, v12, v10
	v_fmac_f32_e32 v12, v13, v11
	v_fma_f32 v9, -v9, v12, v10
	v_div_fmas_f32 v9, v9, v11, v12
	v_div_fixup_f32 v8, v9, v5, v8
.LBB19_152:
	s_or_b64 exec, exec, s[6:7]
	global_store_dword v0, v4, s[8:9]
	global_store_dword v1, v6, s[8:9]
	;; [unrolled: 1-line block ×4, first 2 shown]
	s_endpgm
.LBB19_153:
	v_mov_b32_e32 v0, 0
	v_mov_b32_e32 v2, 0
	s_branch .LBB19_159
.LBB19_154:
	v_mov_b32_e32 v0, 0
	v_mov_b32_e32 v2, 0
	s_branch .LBB19_195
.LBB19_155:
	s_mov_b32 s57, 0
	v_mov_b32_e32 v0, 0
	v_mov_b32_e32 v2, 0
	;; [unrolled: 1-line block ×3, first 2 shown]
.LBB19_156:
	s_and_b32 s4, s58, 3
	s_cmp_eq_u32 s4, 0
	s_cbranch_scc1 .LBB19_159
; %bb.157:
	s_lshl_b32 s0, s57, 3
	s_add_u32 s0, s34, s0
	s_addc_u32 s1, s35, 0
	s_add_u32 s0, s0, 0xc4
	s_addc_u32 s1, s1, 0
	s_mul_i32 s2, s57, 12
	s_add_u32 s2, s34, s2
	s_addc_u32 s3, s35, 0
.LBB19_158:                             ; =>This Inner Loop Header: Depth=1
	s_load_dwordx2 s[6:7], s[2:3], 0x4
	s_load_dword s5, s[2:3], 0xc
	s_load_dwordx2 s[8:9], s[0:1], 0x0
	s_add_u32 s2, s2, 12
	s_addc_u32 s3, s3, 0
	s_waitcnt lgkmcnt(0)
	v_mul_hi_u32 v3, s7, v1
	s_add_u32 s0, s0, 8
	s_addc_u32 s1, s1, 0
	s_add_i32 s4, s4, -1
	v_add_u32_e32 v3, v1, v3
	v_lshrrev_b32_e32 v5, s5, v3
	v_mul_lo_u32 v3, v5, s6
	s_cmp_lg_u32 s4, 0
	v_sub_u32_e32 v3, v1, v3
	v_mad_u64_u32 v[0:1], s[6:7], v3, s8, v[0:1]
	v_mad_u64_u32 v[2:3], s[6:7], v3, s9, v[2:3]
	v_mov_b32_e32 v1, v5
	s_cbranch_scc1 .LBB19_158
.LBB19_159:
	s_cbranch_execnz .LBB19_162
.LBB19_160:
	s_waitcnt lgkmcnt(0)
	v_mul_hi_u32 v0, s25, v4
	s_andn2_b64 vcc, exec, s[42:43]
	v_add_u32_e32 v0, v4, v0
	v_lshrrev_b32_e32 v1, s26, v0
	v_mul_lo_u32 v0, v1, s24
	v_sub_u32_e32 v2, v4, v0
	v_mul_lo_u32 v0, v2, s20
	v_mul_lo_u32 v2, v2, s21
	s_cbranch_vccnz .LBB19_162
; %bb.161:
	v_mul_hi_u32 v3, s40, v1
	v_add_u32_e32 v3, v1, v3
	v_lshrrev_b32_e32 v3, s41, v3
	v_mul_lo_u32 v3, v3, s27
	v_sub_u32_e32 v3, v1, v3
	v_mad_u64_u32 v[0:1], s[0:1], v3, s22, v[0:1]
	v_mad_u64_u32 v[2:3], s[0:1], v3, s23, v[2:3]
.LBB19_162:
	s_waitcnt lgkmcnt(0)
	global_load_dword v1, v2, s[18:19]
	s_mov_b32 s0, 0x40a00000
                                        ; implicit-def: $vgpr2
	s_waitcnt vmcnt(0)
	v_cmp_ge_f32_e32 vcc, s0, v1
	s_and_saveexec_b64 s[0:1], vcc
	s_xor_b64 s[2:3], exec, s[0:1]
	s_cbranch_execz .LBB19_172
; %bb.163:
	v_cmp_neq_f32_e32 vcc, 0, v1
	v_mov_b32_e32 v2, 0xff800000
	s_and_saveexec_b64 s[4:5], vcc
	s_cbranch_execz .LBB19_171
; %bb.164:
	v_cmp_ngt_f32_e32 vcc, 0, v1
	v_mov_b32_e32 v2, 0x7fc00000
	s_and_saveexec_b64 s[6:7], vcc
	s_cbranch_execz .LBB19_170
; %bb.165:
	v_mul_f32_e32 v2, v1, v1
	s_mov_b32 s0, 0x3727c5ac
	v_mul_f32_e32 v5, 0, v2
	v_cmp_ngt_f32_e32 vcc, s0, v1
                                        ; implicit-def: $vgpr3
	s_and_saveexec_b64 s[0:1], vcc
	s_xor_b64 s[0:1], exec, s[0:1]
	s_cbranch_execz .LBB19_167
; %bb.166:
	v_add_f32_e32 v3, 0xcf8ee29d, v5
	v_mov_b32_e32 v6, 0x53e3ba8e
	v_fmac_f32_e32 v6, v2, v3
	v_mov_b32_e32 v3, 0xd762b0a7
	v_fmac_f32_e32 v3, v2, v6
	v_add_f32_e32 v6, 0x43f9c815, v5
	v_mov_b32_e32 v7, 0x4829b65a
	v_fmac_f32_e32 v7, v2, v6
	v_mov_b32_e32 v6, 0x4c38c9a1
	v_fmac_f32_e32 v6, v2, v7
	;; [unrolled: 2-line block ×8, first 2 shown]
	v_add_f32_e32 v3, 0xc0b90fdc, v2
	v_add_f32_e32 v8, 0xc1f3c525, v2
	v_mul_f32_e32 v3, v3, v8
	v_mul_f32_e32 v3, v3, v6
	v_div_scale_f32 v6, s[8:9], v7, v7, v3
	v_div_scale_f32 v8, vcc, v3, v7, v3
	v_rcp_f32_e32 v9, v6
	v_fma_f32 v10, -v6, v9, 1.0
	v_fmac_f32_e32 v9, v10, v9
	v_mul_f32_e32 v10, v8, v9
	v_fma_f32 v11, -v6, v10, v8
	v_fmac_f32_e32 v10, v11, v9
	v_fma_f32 v6, -v6, v10, v8
	v_div_fmas_f32 v6, v6, v9, v10
	v_div_fixup_f32 v3, v6, v7, v3
.LBB19_167:
	s_andn2_saveexec_b64 s[0:1], s[0:1]
; %bb.168:
	s_mov_b32 s8, 0xbe800000
	v_fma_f32 v3, v2, s8, 1.0
; %bb.169:
	s_or_b64 exec, exec, s[0:1]
	v_add_f32_e32 v6, 0x4673a1bf, v5
	v_mov_b32_e32 v7, 0xcb5fc0fa
	v_fmac_f32_e32 v7, v2, v6
	v_mov_b32_e32 v6, 0x4fa1fbc8
	v_fmac_f32_e32 v6, v2, v7
	v_mov_b32_e32 v7, 0xd364abdf
	v_fmac_f32_e32 v7, v2, v6
	v_mov_b32_e32 v6, 0x569f5392
	v_fmac_f32_e32 v6, v2, v7
	v_mov_b32_e32 v7, 0xd945090f
	v_fmac_f32_e32 v7, v2, v6
	v_mov_b32_e32 v6, 0x5b1d4a5b
	v_fmac_f32_e32 v6, v2, v7
	v_add_f32_e32 v5, 0x44822913, v5
	v_mov_b32_e32 v7, 0x4918dbb5
	v_fmac_f32_e32 v7, v2, v5
	v_mov_b32_e32 v5, 0x4d803b1b
	v_fmac_f32_e32 v5, v2, v7
	;; [unrolled: 2-line block ×7, first 2 shown]
	v_div_scale_f32 v2, s[0:1], v5, v5, v7
	v_div_scale_f32 v6, vcc, v7, v5, v7
	s_mov_b32 s0, 0x800000
	v_rcp_f32_e32 v8, v2
	v_fma_f32 v9, -v2, v8, 1.0
	v_fmac_f32_e32 v8, v9, v8
	v_mul_f32_e32 v9, v6, v8
	v_fma_f32 v10, -v2, v9, v6
	v_fmac_f32_e32 v9, v10, v8
	v_fma_f32 v2, -v2, v9, v6
	v_div_fmas_f32 v2, v2, v8, v9
	v_cmp_gt_f32_e32 vcc, s0, v1
	v_cndmask_b32_e64 v6, 0, 32, vcc
	v_ldexp_f32 v1, v1, v6
	v_log_f32_e32 v1, v1
	s_mov_b32 s0, 0x3f317217
	v_mul_f32_e32 v6, 0x3f317217, v1
	v_fma_f32 v6, v1, s0, -v6
	v_fmac_f32_e32 v6, 0x3377d1cf, v1
	s_mov_b32 s0, 0x7f800000
	v_fmac_f32_e32 v6, 0x3f317217, v1
	v_cmp_lt_f32_e64 s[0:1], |v1|, s0
	v_cndmask_b32_e64 v1, v1, v6, s[0:1]
	v_div_fixup_f32 v2, v2, v5, v7
	v_mov_b32_e32 v5, 0x41b17218
	v_cndmask_b32_e32 v5, 0, v5, vcc
	v_sub_f32_e32 v1, v1, v5
	v_mul_f32_e32 v1, 0x3f22f983, v1
	v_fmac_f32_e32 v2, v1, v3
.LBB19_170:
	s_or_b64 exec, exec, s[6:7]
.LBB19_171:
	s_or_b64 exec, exec, s[4:5]
                                        ; implicit-def: $vgpr1
.LBB19_172:
	s_andn2_saveexec_b64 s[6:7], s[2:3]
	s_cbranch_execz .LBB19_182
; %bb.173:
	v_add_f32_e32 v2, 0xbf490fdb, v1
	s_brev_b32 s0, 18
	v_and_b32_e32 v3, 0x7fffffff, v2
	v_cmp_nlt_f32_e64 s[8:9], |v2|, s0
                                        ; implicit-def: $vgpr5
                                        ; implicit-def: $vgpr6
	s_and_saveexec_b64 s[0:1], s[8:9]
	s_xor_b64 s[10:11], exec, s[0:1]
	s_cbranch_execz .LBB19_175
; %bb.174:
	v_and_b32_e32 v5, 0x7fffff, v3
	v_or_b32_e32 v14, 0x800000, v5
	s_mov_b32 s0, 0xfe5163ab
	v_mad_u64_u32 v[5:6], s[0:1], v14, s0, 0
	v_mov_b32_e32 v7, 0
	s_mov_b32 s0, 0x3c439041
	v_mad_u64_u32 v[8:9], s[0:1], v14, s0, v[6:7]
	s_mov_b32 s0, 0xdb629599
	v_not_b32_e32 v13, 63
	v_mov_b32_e32 v6, v9
	v_mad_u64_u32 v[9:10], s[0:1], v14, s0, v[6:7]
	s_mov_b32 s0, 0xf534ddc0
	v_not_b32_e32 v16, 31
	v_mov_b32_e32 v6, v10
	v_mad_u64_u32 v[10:11], s[0:1], v14, s0, v[6:7]
	v_lshrrev_b32_e32 v6, 23, v3
	v_add_u32_e32 v15, 0xffffff88, v6
	v_mov_b32_e32 v6, v11
	s_mov_b32 s0, 0xfc2757d1
	v_mad_u64_u32 v[11:12], s[0:1], v14, s0, v[6:7]
	v_cmp_lt_u32_e32 vcc, 63, v15
	v_cndmask_b32_e32 v6, 0, v13, vcc
	v_add_u32_e32 v15, v6, v15
	v_mov_b32_e32 v6, v12
	s_mov_b32 s0, 0x4e441529
	v_mad_u64_u32 v[12:13], s[0:1], v14, s0, v[6:7]
	v_cmp_lt_u32_e64 s[0:1], 31, v15
	v_cndmask_b32_e64 v6, 0, v16, s[0:1]
	v_add_u32_e32 v15, v6, v15
	v_mov_b32_e32 v6, v13
	s_mov_b32 s2, 0xa2f9836e
	v_mad_u64_u32 v[6:7], s[2:3], v14, s2, v[6:7]
	v_cmp_lt_u32_e64 s[2:3], 31, v15
	v_cndmask_b32_e64 v13, 0, v16, s[2:3]
	v_cndmask_b32_e32 v14, v12, v10, vcc
	v_cndmask_b32_e32 v6, v6, v11, vcc
	;; [unrolled: 1-line block ×3, first 2 shown]
	v_add_u32_e32 v13, v13, v15
	v_cndmask_b32_e64 v15, v6, v14, s[0:1]
	v_cndmask_b32_e64 v6, v7, v6, s[0:1]
	v_cndmask_b32_e32 v7, v11, v9, vcc
	v_cndmask_b32_e64 v11, v14, v7, s[0:1]
	v_cndmask_b32_e64 v6, v6, v15, s[2:3]
	;; [unrolled: 1-line block ×3, first 2 shown]
	v_sub_u32_e32 v14, 32, v13
	v_alignbit_b32 v15, v6, v12, v14
	v_cmp_eq_u32_e64 s[4:5], 0, v13
	v_cndmask_b32_e64 v13, v15, v6, s[4:5]
	v_cndmask_b32_e32 v6, v10, v8, vcc
	v_cndmask_b32_e64 v7, v7, v6, s[0:1]
	v_cndmask_b32_e64 v8, v11, v7, s[2:3]
	v_alignbit_b32 v10, v12, v8, v14
	v_cndmask_b32_e32 v5, v9, v5, vcc
	v_cndmask_b32_e64 v10, v10, v12, s[4:5]
	v_bfe_u32 v15, v13, 29, 1
	v_cndmask_b32_e64 v5, v6, v5, s[0:1]
	v_alignbit_b32 v11, v13, v10, 30
	v_sub_u32_e32 v16, 0, v15
	v_cndmask_b32_e64 v5, v7, v5, s[2:3]
	v_xor_b32_e32 v11, v11, v16
	v_alignbit_b32 v6, v8, v5, v14
	v_cndmask_b32_e64 v6, v6, v8, s[4:5]
	v_ffbh_u32_e32 v8, v11
	v_alignbit_b32 v7, v10, v6, 30
	v_min_u32_e32 v8, 32, v8
	v_alignbit_b32 v5, v6, v5, 30
	v_xor_b32_e32 v7, v7, v16
	v_sub_u32_e32 v9, 31, v8
	v_xor_b32_e32 v5, v5, v16
	v_alignbit_b32 v10, v11, v7, v9
	v_alignbit_b32 v5, v7, v5, v9
	;; [unrolled: 1-line block ×3, first 2 shown]
	v_ffbh_u32_e32 v7, v6
	v_min_u32_e32 v7, 32, v7
	v_lshrrev_b32_e32 v12, 29, v13
	v_not_b32_e32 v9, v7
	v_alignbit_b32 v5, v6, v5, v9
	v_lshlrev_b32_e32 v6, 31, v12
	v_or_b32_e32 v9, 0x33000000, v6
	v_add_lshl_u32 v7, v7, v8, 23
	v_lshrrev_b32_e32 v5, 9, v5
	v_sub_u32_e32 v7, v9, v7
	v_or_b32_e32 v6, 0.5, v6
	v_lshlrev_b32_e32 v8, 23, v8
	v_or_b32_e32 v5, v7, v5
	v_lshrrev_b32_e32 v7, 9, v10
	v_sub_u32_e32 v6, v6, v8
	v_or_b32_e32 v6, v7, v6
	s_mov_b32 s0, 0x3fc90fda
	v_mul_f32_e32 v7, 0x3fc90fda, v6
	v_fma_f32 v8, v6, s0, -v7
	v_fmac_f32_e32 v8, 0x33a22168, v6
	v_fmac_f32_e32 v8, 0x3fc90fda, v5
	v_lshrrev_b32_e32 v5, 30, v13
	v_add_f32_e32 v6, v7, v8
	v_add_u32_e32 v5, v15, v5
	s_andn2_saveexec_b64 s[0:1], s[10:11]
	s_cbranch_execz .LBB19_177
	s_branch .LBB19_176
.LBB19_175:
	s_andn2_saveexec_b64 s[0:1], s[10:11]
	s_cbranch_execz .LBB19_177
.LBB19_176:
	s_mov_b32 s2, 0x3f22f983
	v_mul_f32_e64 v5, |v2|, s2
	v_rndne_f32_e32 v7, v5
	s_mov_b32 s2, 0xbfc90fda
	v_cvt_i32_f32_e32 v5, v7
	v_fma_f32 v6, v7, s2, |v2|
	v_fmac_f32_e32 v6, 0xb3a22168, v7
	v_fmac_f32_e32 v6, 0xa7c234c4, v7
.LBB19_177:
	s_or_b64 exec, exec, s[0:1]
                                        ; implicit-def: $vgpr7
                                        ; implicit-def: $vgpr8
	s_and_saveexec_b64 s[0:1], s[8:9]
	s_xor_b64 s[8:9], exec, s[0:1]
	s_cbranch_execz .LBB19_179
; %bb.178:
	v_and_b32_e32 v7, 0x7fffff, v3
	v_or_b32_e32 v16, 0x800000, v7
	s_mov_b32 s0, 0xfe5163ab
	v_mad_u64_u32 v[7:8], s[0:1], v16, s0, 0
	v_mov_b32_e32 v9, 0
	s_mov_b32 s0, 0x3c439041
	v_mad_u64_u32 v[10:11], s[0:1], v16, s0, v[8:9]
	s_mov_b32 s0, 0xdb629599
	v_not_b32_e32 v15, 63
	v_mov_b32_e32 v8, v11
	v_mad_u64_u32 v[11:12], s[0:1], v16, s0, v[8:9]
	s_mov_b32 s0, 0xf534ddc0
	v_not_b32_e32 v18, 31
	v_mov_b32_e32 v8, v12
	v_mad_u64_u32 v[12:13], s[0:1], v16, s0, v[8:9]
	v_lshrrev_b32_e32 v8, 23, v3
	v_add_u32_e32 v17, 0xffffff88, v8
	v_mov_b32_e32 v8, v13
	s_mov_b32 s0, 0xfc2757d1
	v_mad_u64_u32 v[13:14], s[0:1], v16, s0, v[8:9]
	v_cmp_lt_u32_e32 vcc, 63, v17
	v_cndmask_b32_e32 v8, 0, v15, vcc
	v_add_u32_e32 v17, v8, v17
	v_mov_b32_e32 v8, v14
	s_mov_b32 s0, 0x4e441529
	v_mad_u64_u32 v[14:15], s[0:1], v16, s0, v[8:9]
	v_cmp_lt_u32_e64 s[0:1], 31, v17
	v_cndmask_b32_e64 v8, 0, v18, s[0:1]
	v_add_u32_e32 v17, v8, v17
	v_mov_b32_e32 v8, v15
	s_mov_b32 s2, 0xa2f9836e
	v_mad_u64_u32 v[8:9], s[2:3], v16, s2, v[8:9]
	v_cmp_lt_u32_e64 s[2:3], 31, v17
	v_cndmask_b32_e64 v15, 0, v18, s[2:3]
	v_cndmask_b32_e32 v16, v14, v12, vcc
	v_cndmask_b32_e32 v8, v8, v13, vcc
	;; [unrolled: 1-line block ×3, first 2 shown]
	v_add_u32_e32 v15, v15, v17
	v_cndmask_b32_e64 v17, v8, v16, s[0:1]
	v_cndmask_b32_e64 v8, v9, v8, s[0:1]
	v_cndmask_b32_e32 v9, v13, v11, vcc
	v_cndmask_b32_e64 v13, v16, v9, s[0:1]
	v_cndmask_b32_e64 v8, v8, v17, s[2:3]
	;; [unrolled: 1-line block ×3, first 2 shown]
	v_sub_u32_e32 v16, 32, v15
	v_alignbit_b32 v17, v8, v14, v16
	v_cmp_eq_u32_e64 s[4:5], 0, v15
	v_cndmask_b32_e64 v15, v17, v8, s[4:5]
	v_cndmask_b32_e32 v8, v12, v10, vcc
	v_cndmask_b32_e64 v9, v9, v8, s[0:1]
	v_cndmask_b32_e64 v10, v13, v9, s[2:3]
	v_alignbit_b32 v12, v14, v10, v16
	v_cndmask_b32_e32 v7, v11, v7, vcc
	v_cndmask_b32_e64 v12, v12, v14, s[4:5]
	v_bfe_u32 v17, v15, 29, 1
	v_cndmask_b32_e64 v7, v8, v7, s[0:1]
	v_alignbit_b32 v13, v15, v12, 30
	v_sub_u32_e32 v18, 0, v17
	v_cndmask_b32_e64 v7, v9, v7, s[2:3]
	v_xor_b32_e32 v13, v13, v18
	v_alignbit_b32 v8, v10, v7, v16
	v_cndmask_b32_e64 v8, v8, v10, s[4:5]
	v_ffbh_u32_e32 v10, v13
	v_alignbit_b32 v9, v12, v8, 30
	v_min_u32_e32 v10, 32, v10
	v_alignbit_b32 v7, v8, v7, 30
	v_xor_b32_e32 v9, v9, v18
	v_sub_u32_e32 v11, 31, v10
	v_xor_b32_e32 v7, v7, v18
	v_alignbit_b32 v12, v13, v9, v11
	v_alignbit_b32 v7, v9, v7, v11
	;; [unrolled: 1-line block ×3, first 2 shown]
	v_ffbh_u32_e32 v9, v8
	v_min_u32_e32 v9, 32, v9
	v_lshrrev_b32_e32 v14, 29, v15
	v_not_b32_e32 v11, v9
	v_alignbit_b32 v7, v8, v7, v11
	v_lshlrev_b32_e32 v8, 31, v14
	v_or_b32_e32 v11, 0x33000000, v8
	v_add_lshl_u32 v9, v9, v10, 23
	v_lshrrev_b32_e32 v7, 9, v7
	v_sub_u32_e32 v9, v11, v9
	v_or_b32_e32 v8, 0.5, v8
	v_lshlrev_b32_e32 v10, 23, v10
	v_or_b32_e32 v7, v9, v7
	v_lshrrev_b32_e32 v9, 9, v12
	v_sub_u32_e32 v8, v8, v10
	v_or_b32_e32 v8, v9, v8
	s_mov_b32 s0, 0x3fc90fda
	v_mul_f32_e32 v9, 0x3fc90fda, v8
	v_fma_f32 v10, v8, s0, -v9
	v_fmac_f32_e32 v10, 0x33a22168, v8
	v_fmac_f32_e32 v10, 0x3fc90fda, v7
	v_lshrrev_b32_e32 v7, 30, v15
	v_add_f32_e32 v8, v9, v10
	v_add_u32_e32 v7, v17, v7
	s_andn2_saveexec_b64 s[0:1], s[8:9]
	s_cbranch_execnz .LBB19_180
	s_branch .LBB19_181
.LBB19_179:
	s_andn2_saveexec_b64 s[0:1], s[8:9]
	s_cbranch_execz .LBB19_181
.LBB19_180:
	s_mov_b32 s2, 0x3f22f983
	v_mul_f32_e64 v7, |v2|, s2
	v_rndne_f32_e32 v9, v7
	s_mov_b32 s2, 0xbfc90fda
	v_cvt_i32_f32_e32 v7, v9
	v_fma_f32 v8, v9, s2, |v2|
	v_fmac_f32_e32 v8, 0xb3a22168, v9
	v_fmac_f32_e32 v8, 0xa7c234c4, v9
.LBB19_181:
	s_or_b64 exec, exec, s[0:1]
	v_mul_f32_e32 v9, v1, v1
	s_mov_b32 s2, 0x41c80000
	v_div_scale_f32 v10, s[0:1], v9, v9, s2
	v_div_scale_f32 v11, vcc, s2, v9, s2
	v_mov_b32_e32 v12, 0x3a50e985
	v_mov_b32_e32 v14, 0x3da9a586
	;; [unrolled: 1-line block ×12, first 2 shown]
	v_rcp_f32_e32 v13, v10
	v_mov_b32_e32 v27, 0xc331ae61
	v_mov_b32_e32 v28, 0xc31313d7
	;; [unrolled: 1-line block ×3, first 2 shown]
	v_fma_f32 v17, -v10, v13, 1.0
	v_fmac_f32_e32 v13, v17, v13
	v_mul_f32_e32 v17, v11, v13
	v_fma_f32 v18, -v10, v17, v11
	v_fmac_f32_e32 v17, v18, v13
	v_fma_f32 v10, -v10, v17, v11
	v_div_fmas_f32 v10, v10, v13, v17
	v_mov_b32_e32 v17, 0x3a725406
	v_mov_b32_e32 v18, 0x3daf5e2d
	;; [unrolled: 1-line block ×6, first 2 shown]
	v_xor_b32_e32 v3, v3, v2
	v_mov_b32_e32 v30, 0x3c0881c4
	v_div_fixup_f32 v10, v10, v9, s2
	v_fmac_f32_e32 v12, 0, v10
	v_fmac_f32_e32 v17, 0, v10
	;; [unrolled: 1-line block ×12, first 2 shown]
	v_fma_f32 v11, v10, v22, 1.0
	v_fma_f32 v12, v10, v13, 1.0
	v_div_scale_f32 v13, s[0:1], v11, v11, v12
	v_div_scale_f32 v17, vcc, v12, v11, v12
	v_mov_b32_e32 v14, 0x4280a2ba
	s_mov_b32 s2, 0x40a00000
	v_fmac_f32_e32 v23, 0, v10
	v_mov_b32_e32 v15, 0x44561b86
	v_div_scale_f32 v34, s[0:1], v1, v1, s2
	v_fmac_f32_e32 v14, 0, v10
	v_fmac_f32_e32 v24, v10, v23
	v_mov_b32_e32 v16, 0x4572a66e
	v_fmac_f32_e32 v15, v10, v14
	v_fmac_f32_e32 v25, v10, v24
	v_mov_b32_e32 v18, 0x45e243be
	v_rcp_f32_e32 v33, v13
	v_fmac_f32_e32 v16, v10, v15
	v_fmac_f32_e32 v26, v10, v25
	v_mov_b32_e32 v19, 0x45b955d1
	v_fma_f32 v35, -v13, v33, 1.0
	v_fmac_f32_e32 v33, v35, v33
	v_mul_f32_e32 v35, v17, v33
	v_fma_f32 v36, -v13, v35, v17
	v_fmac_f32_e32 v35, v36, v33
	v_fma_f32 v13, -v13, v35, v17
	v_div_fmas_f32 v13, v13, v33, v35
	v_fmac_f32_e32 v18, v10, v16
	v_fmac_f32_e32 v27, v10, v26
	v_mov_b32_e32 v20, 0x4500e17e
	v_fmac_f32_e32 v19, v10, v18
	v_fmac_f32_e32 v28, v10, v27
	v_mov_b32_e32 v9, 0xc0c19ac7
	v_mov_b32_e32 v21, 0x43720178
	v_fmac_f32_e32 v20, v10, v19
	v_fmac_f32_e32 v29, v10, v28
	v_fmac_f32_e32 v21, v10, v20
	v_fmac_f32_e32 v9, v10, v29
	v_rcp_f32_e32 v16, v34
	v_mul_f32_e32 v22, v6, v6
	v_mov_b32_e32 v14, 0xbab64f3b
	v_fmac_f32_e32 v31, 0xb94c1982, v22
	v_div_fixup_f32 v10, v13, v11, v12
	v_div_scale_f32 v12, vcc, s2, v1, s2
	v_div_scale_f32 v13, s[0:1], v21, v21, v9
	v_div_scale_f32 v15, s[0:1], v9, v21, v9
	v_fma_f32 v19, -v34, v16, 1.0
	v_fmac_f32_e32 v16, v19, v16
	v_fmac_f32_e32 v14, 0x37d75334, v22
	v_mov_b32_e32 v17, 0x3d2aabf7
	v_fma_f32 v11, v22, v31, v32
	v_fma_f32 v14, v22, v14, v17
	v_mov_b32_e32 v18, 0xbf000004
	v_mul_f32_e32 v11, v22, v11
	v_fma_f32 v14, v22, v14, v18
	v_fmac_f32_e32 v6, v6, v11
	v_mul_f32_e32 v19, v12, v16
	v_fma_f32 v20, -v34, v19, v12
	v_fmac_f32_e32 v19, v20, v16
	v_rcp_f32_e32 v20, v13
	v_fma_f32 v12, -v34, v19, v12
	v_div_fmas_f32 v12, v12, v16, v19
	s_mov_b64 vcc, s[0:1]
	v_fma_f32 v16, -v13, v20, 1.0
	v_fmac_f32_e32 v20, v16, v20
	v_mul_f32_e32 v16, v15, v20
	v_fma_f32 v19, -v13, v16, v15
	v_fmac_f32_e32 v16, v19, v20
	v_fma_f32 v13, -v13, v16, v15
	v_div_fmas_f32 v13, v13, v20, v16
	v_and_b32_e32 v15, 1, v5
	v_lshlrev_b32_e32 v5, 30, v5
	v_fma_f32 v14, v22, v14, 1.0
	v_cmp_eq_u32_e32 vcc, 0, v15
	v_and_b32_e32 v5, 0x80000000, v5
	v_cndmask_b32_e32 v6, v14, v6, vcc
	v_xor_b32_e32 v3, v3, v5
	s_movk_i32 s0, 0x1f8
	v_xor_b32_e32 v3, v3, v6
	v_mov_b32_e32 v5, 0x7fc00000
	v_cmp_class_f32_e64 vcc, v2, s0
	v_cndmask_b32_e32 v2, v5, v3, vcc
	v_div_fixup_f32 v3, v12, v1, s2
	v_mov_b32_e32 v11, 0xbab64f3b
	v_div_fixup_f32 v6, v13, v21, v9
	v_mul_f32_e32 v3, v3, v6
	v_mul_f32_e32 v6, v8, v8
	v_fmac_f32_e32 v30, 0xb94c1982, v6
	v_fmac_f32_e32 v32, v6, v30
	;; [unrolled: 1-line block ×3, first 2 shown]
	v_mul_f32_e32 v9, v6, v32
	v_fmac_f32_e32 v17, v6, v11
	v_fmac_f32_e32 v8, v8, v9
	;; [unrolled: 1-line block ×3, first 2 shown]
	v_and_b32_e32 v9, 1, v7
	v_fma_f32 v6, v6, v18, 1.0
	v_cmp_eq_u32_e64 s[0:1], 0, v9
	v_lshlrev_b32_e32 v7, 30, v7
	v_cndmask_b32_e64 v6, -v8, v6, s[0:1]
	v_and_b32_e32 v7, 0x80000000, v7
	v_xor_b32_e32 v6, v7, v6
	s_mov_b32 s0, 0xf800000
	v_cndmask_b32_e32 v5, v5, v6, vcc
	v_mul_f32_e32 v6, 0x4f800000, v1
	v_cmp_gt_f32_e32 vcc, s0, v1
	v_cndmask_b32_e32 v1, v1, v6, vcc
	v_sqrt_f32_e32 v6, v1
	v_mul_f32_e32 v3, v3, v5
	v_fmac_f32_e32 v3, v10, v2
	v_mul_f32_e32 v2, 0x3f4c422a, v3
	v_add_u32_e32 v3, -1, v6
	v_fma_f32 v5, -v3, v6, v1
	v_cmp_ge_f32_e64 s[0:1], 0, v5
	v_add_u32_e32 v5, 1, v6
	v_cndmask_b32_e64 v3, v6, v3, s[0:1]
	v_fma_f32 v6, -v5, v6, v1
	v_cmp_lt_f32_e64 s[0:1], 0, v6
	v_cndmask_b32_e64 v3, v3, v5, s[0:1]
	v_mul_f32_e32 v5, 0x37800000, v3
	v_cndmask_b32_e32 v3, v3, v5, vcc
	v_mov_b32_e32 v5, 0x260
	v_cmp_class_f32_e32 vcc, v1, v5
	v_cndmask_b32_e32 v1, v3, v1, vcc
	v_div_scale_f32 v3, s[0:1], v1, v1, v2
	v_div_scale_f32 v5, vcc, v2, v1, v2
	v_rcp_f32_e32 v6, v3
	v_fma_f32 v7, -v3, v6, 1.0
	v_fmac_f32_e32 v6, v7, v6
	v_mul_f32_e32 v7, v5, v6
	v_fma_f32 v8, -v3, v7, v5
	v_fmac_f32_e32 v7, v8, v6
	v_fma_f32 v3, -v3, v7, v5
	v_div_fmas_f32 v3, v3, v6, v7
	v_div_fixup_f32 v2, v3, v1, v2
.LBB19_182:
	s_or_b64 exec, exec, s[6:7]
	v_add_u32_e32 v4, 0x80, v4
	global_store_dword v0, v2, s[16:17]
	s_or_b64 exec, exec, s[48:49]
	v_cmp_gt_i32_e32 vcc, s55, v4
	s_and_saveexec_b64 s[48:49], vcc
	s_cbranch_execnz .LBB19_15
.LBB19_183:
	s_or_b64 exec, exec, s[48:49]
	v_cmp_gt_i32_e32 vcc, s55, v4
	s_and_saveexec_b64 s[48:49], vcc
	s_cbranch_execz .LBB19_219
.LBB19_184:
	s_andn2_b64 vcc, exec, s[36:37]
	s_cbranch_vccnz .LBB19_189
; %bb.185:
	s_andn2_b64 vcc, exec, s[46:47]
	s_cbranch_vccnz .LBB19_190
; %bb.186:
	s_add_i32 s58, s56, 1
	s_cmp_eq_u32 s54, 2
	s_cbranch_scc1 .LBB19_222
; %bb.187:
	s_and_b32 s57, s58, 28
	v_mov_b32_e32 v2, 0
	s_mov_b32 s59, 0
	s_mov_b64 s[50:51], s[34:35]
	s_mov_b64 s[52:53], s[44:45]
	v_mov_b32_e32 v0, 0
	v_mov_b32_e32 v1, v4
.LBB19_188:                             ; =>This Inner Loop Header: Depth=1
	s_load_dwordx8 s[8:15], s[50:51], 0x4
	s_load_dwordx4 s[28:31], s[50:51], 0x24
	s_load_dwordx8 s[0:7], s[52:53], 0x0
	s_add_u32 s50, s50, 48
	s_addc_u32 s51, s51, 0
	s_waitcnt lgkmcnt(0)
	v_mul_hi_u32 v3, s9, v1
	s_add_i32 s59, s59, 4
	s_add_u32 s52, s52, 32
	s_addc_u32 s53, s53, 0
	v_add_u32_e32 v3, v1, v3
	v_lshrrev_b32_e32 v3, s10, v3
	v_mul_lo_u32 v5, v3, s8
	v_mul_hi_u32 v6, s12, v3
	s_cmp_eq_u32 s57, s59
	v_sub_u32_e32 v1, v1, v5
	v_add_u32_e32 v5, v3, v6
	v_mul_lo_u32 v6, v1, s0
	v_mul_lo_u32 v7, v1, s1
	v_lshrrev_b32_e32 v1, s13, v5
	v_mul_lo_u32 v5, v1, s11
	v_mul_hi_u32 v8, s15, v1
	v_sub_u32_e32 v3, v3, v5
	v_add_u32_e32 v5, v1, v8
	v_lshrrev_b32_e32 v5, s28, v5
	v_mul_hi_u32 v9, s30, v5
	v_mul_lo_u32 v10, v5, s14
	v_mul_lo_u32 v8, v3, s2
	;; [unrolled: 1-line block ×3, first 2 shown]
	v_sub_u32_e32 v10, v1, v10
	v_add_u32_e32 v1, v5, v9
	v_lshrrev_b32_e32 v1, s31, v1
	v_mul_lo_u32 v9, v1, s29
	v_mul_lo_u32 v11, v10, s4
	;; [unrolled: 1-line block ×3, first 2 shown]
	v_add3_u32 v0, v6, v0, v8
	v_sub_u32_e32 v5, v5, v9
	v_mul_lo_u32 v9, v5, s6
	v_mul_lo_u32 v5, v5, s7
	v_add3_u32 v2, v7, v2, v3
	v_add3_u32 v0, v11, v0, v9
	;; [unrolled: 1-line block ×3, first 2 shown]
	s_cbranch_scc0 .LBB19_188
	s_branch .LBB19_223
.LBB19_189:
                                        ; implicit-def: $vgpr0
                                        ; implicit-def: $vgpr2
	s_branch .LBB19_227
.LBB19_190:
	v_mov_b32_e32 v0, 0
	v_mov_b32_e32 v2, 0
	s_branch .LBB19_226
.LBB19_191:
	s_mov_b32 s57, 0
	v_mov_b32_e32 v0, 0
	v_mov_b32_e32 v2, 0
	;; [unrolled: 1-line block ×3, first 2 shown]
.LBB19_192:
	s_and_b32 s4, s58, 3
	s_cmp_eq_u32 s4, 0
	s_cbranch_scc1 .LBB19_195
; %bb.193:
	s_lshl_b32 s0, s57, 3
	s_add_u32 s0, s34, s0
	s_addc_u32 s1, s35, 0
	s_add_u32 s0, s0, 0xc4
	s_addc_u32 s1, s1, 0
	s_mul_i32 s2, s57, 12
	s_add_u32 s2, s34, s2
	s_addc_u32 s3, s35, 0
.LBB19_194:                             ; =>This Inner Loop Header: Depth=1
	s_load_dwordx2 s[6:7], s[2:3], 0x4
	s_load_dword s5, s[2:3], 0xc
	s_load_dwordx2 s[8:9], s[0:1], 0x0
	s_add_u32 s2, s2, 12
	s_addc_u32 s3, s3, 0
	s_waitcnt lgkmcnt(0)
	v_mul_hi_u32 v3, s7, v1
	s_add_u32 s0, s0, 8
	s_addc_u32 s1, s1, 0
	s_add_i32 s4, s4, -1
	v_add_u32_e32 v3, v1, v3
	v_lshrrev_b32_e32 v5, s5, v3
	v_mul_lo_u32 v3, v5, s6
	s_cmp_lg_u32 s4, 0
	v_sub_u32_e32 v3, v1, v3
	v_mad_u64_u32 v[0:1], s[6:7], v3, s8, v[0:1]
	v_mad_u64_u32 v[2:3], s[6:7], v3, s9, v[2:3]
	v_mov_b32_e32 v1, v5
	s_cbranch_scc1 .LBB19_194
.LBB19_195:
	s_cbranch_execnz .LBB19_198
.LBB19_196:
	s_waitcnt lgkmcnt(0)
	v_mul_hi_u32 v0, s25, v4
	s_andn2_b64 vcc, exec, s[42:43]
	v_add_u32_e32 v0, v4, v0
	v_lshrrev_b32_e32 v1, s26, v0
	v_mul_lo_u32 v0, v1, s24
	v_sub_u32_e32 v2, v4, v0
	v_mul_lo_u32 v0, v2, s20
	v_mul_lo_u32 v2, v2, s21
	s_cbranch_vccnz .LBB19_198
; %bb.197:
	v_mul_hi_u32 v3, s40, v1
	v_add_u32_e32 v3, v1, v3
	v_lshrrev_b32_e32 v3, s41, v3
	v_mul_lo_u32 v3, v3, s27
	v_sub_u32_e32 v3, v1, v3
	v_mad_u64_u32 v[0:1], s[0:1], v3, s22, v[0:1]
	v_mad_u64_u32 v[2:3], s[0:1], v3, s23, v[2:3]
.LBB19_198:
	s_waitcnt lgkmcnt(0)
	global_load_dword v1, v2, s[18:19]
	s_mov_b32 s0, 0x40a00000
                                        ; implicit-def: $vgpr2
	s_waitcnt vmcnt(0)
	v_cmp_ge_f32_e32 vcc, s0, v1
	s_and_saveexec_b64 s[0:1], vcc
	s_xor_b64 s[2:3], exec, s[0:1]
	s_cbranch_execz .LBB19_208
; %bb.199:
	v_cmp_neq_f32_e32 vcc, 0, v1
	v_mov_b32_e32 v2, 0xff800000
	s_and_saveexec_b64 s[4:5], vcc
	s_cbranch_execz .LBB19_207
; %bb.200:
	v_cmp_ngt_f32_e32 vcc, 0, v1
	v_mov_b32_e32 v2, 0x7fc00000
	s_and_saveexec_b64 s[6:7], vcc
	s_cbranch_execz .LBB19_206
; %bb.201:
	v_mul_f32_e32 v2, v1, v1
	s_mov_b32 s0, 0x3727c5ac
	v_mul_f32_e32 v5, 0, v2
	v_cmp_ngt_f32_e32 vcc, s0, v1
                                        ; implicit-def: $vgpr3
	s_and_saveexec_b64 s[0:1], vcc
	s_xor_b64 s[0:1], exec, s[0:1]
	s_cbranch_execz .LBB19_203
; %bb.202:
	v_add_f32_e32 v3, 0xcf8ee29d, v5
	v_mov_b32_e32 v6, 0x53e3ba8e
	v_fmac_f32_e32 v6, v2, v3
	v_mov_b32_e32 v3, 0xd762b0a7
	v_fmac_f32_e32 v3, v2, v6
	v_add_f32_e32 v6, 0x43f9c815, v5
	v_mov_b32_e32 v7, 0x4829b65a
	v_fmac_f32_e32 v7, v2, v6
	v_mov_b32_e32 v6, 0x4c38c9a1
	v_fmac_f32_e32 v6, v2, v7
	v_mov_b32_e32 v7, 0x5026ad80
	v_fmac_f32_e32 v7, v2, v6
	v_mov_b32_e32 v6, 0x53f5f59c
	v_fmac_f32_e32 v6, v2, v7
	v_mov_b32_e32 v7, 0x578d3514
	v_fmac_f32_e32 v7, v2, v6
	v_mov_b32_e32 v6, 0x5ae20a0c
	v_fmac_f32_e32 v6, v2, v7
	v_mov_b32_e32 v7, 0x5dbdf1a6
	v_fmac_f32_e32 v7, v2, v6
	v_mov_b32_e32 v6, 0x5a09f7c3
	v_fmac_f32_e32 v6, v2, v3
	v_add_f32_e32 v3, 0xc0b90fdc, v2
	v_add_f32_e32 v8, 0xc1f3c525, v2
	v_mul_f32_e32 v3, v3, v8
	v_mul_f32_e32 v3, v3, v6
	v_div_scale_f32 v6, s[8:9], v7, v7, v3
	v_div_scale_f32 v8, vcc, v3, v7, v3
	v_rcp_f32_e32 v9, v6
	v_fma_f32 v10, -v6, v9, 1.0
	v_fmac_f32_e32 v9, v10, v9
	v_mul_f32_e32 v10, v8, v9
	v_fma_f32 v11, -v6, v10, v8
	v_fmac_f32_e32 v10, v11, v9
	v_fma_f32 v6, -v6, v10, v8
	v_div_fmas_f32 v6, v6, v9, v10
	v_div_fixup_f32 v3, v6, v7, v3
.LBB19_203:
	s_andn2_saveexec_b64 s[0:1], s[0:1]
; %bb.204:
	s_mov_b32 s8, 0xbe800000
	v_fma_f32 v3, v2, s8, 1.0
; %bb.205:
	s_or_b64 exec, exec, s[0:1]
	v_add_f32_e32 v6, 0x4673a1bf, v5
	v_mov_b32_e32 v7, 0xcb5fc0fa
	v_fmac_f32_e32 v7, v2, v6
	v_mov_b32_e32 v6, 0x4fa1fbc8
	v_fmac_f32_e32 v6, v2, v7
	;; [unrolled: 2-line block ×6, first 2 shown]
	v_add_f32_e32 v5, 0x44822913, v5
	v_mov_b32_e32 v7, 0x4918dbb5
	v_fmac_f32_e32 v7, v2, v5
	v_mov_b32_e32 v5, 0x4d803b1b
	v_fmac_f32_e32 v5, v2, v7
	;; [unrolled: 2-line block ×7, first 2 shown]
	v_div_scale_f32 v2, s[0:1], v5, v5, v7
	v_div_scale_f32 v6, vcc, v7, v5, v7
	s_mov_b32 s0, 0x800000
	v_rcp_f32_e32 v8, v2
	v_fma_f32 v9, -v2, v8, 1.0
	v_fmac_f32_e32 v8, v9, v8
	v_mul_f32_e32 v9, v6, v8
	v_fma_f32 v10, -v2, v9, v6
	v_fmac_f32_e32 v9, v10, v8
	v_fma_f32 v2, -v2, v9, v6
	v_div_fmas_f32 v2, v2, v8, v9
	v_cmp_gt_f32_e32 vcc, s0, v1
	v_cndmask_b32_e64 v6, 0, 32, vcc
	v_ldexp_f32 v1, v1, v6
	v_log_f32_e32 v1, v1
	s_mov_b32 s0, 0x3f317217
	v_mul_f32_e32 v6, 0x3f317217, v1
	v_fma_f32 v6, v1, s0, -v6
	v_fmac_f32_e32 v6, 0x3377d1cf, v1
	s_mov_b32 s0, 0x7f800000
	v_fmac_f32_e32 v6, 0x3f317217, v1
	v_cmp_lt_f32_e64 s[0:1], |v1|, s0
	v_cndmask_b32_e64 v1, v1, v6, s[0:1]
	v_div_fixup_f32 v2, v2, v5, v7
	v_mov_b32_e32 v5, 0x41b17218
	v_cndmask_b32_e32 v5, 0, v5, vcc
	v_sub_f32_e32 v1, v1, v5
	v_mul_f32_e32 v1, 0x3f22f983, v1
	v_fmac_f32_e32 v2, v1, v3
.LBB19_206:
	s_or_b64 exec, exec, s[6:7]
.LBB19_207:
	s_or_b64 exec, exec, s[4:5]
                                        ; implicit-def: $vgpr1
.LBB19_208:
	s_andn2_saveexec_b64 s[6:7], s[2:3]
	s_cbranch_execz .LBB19_218
; %bb.209:
	v_add_f32_e32 v2, 0xbf490fdb, v1
	s_brev_b32 s0, 18
	v_and_b32_e32 v3, 0x7fffffff, v2
	v_cmp_nlt_f32_e64 s[8:9], |v2|, s0
                                        ; implicit-def: $vgpr5
                                        ; implicit-def: $vgpr6
	s_and_saveexec_b64 s[0:1], s[8:9]
	s_xor_b64 s[10:11], exec, s[0:1]
	s_cbranch_execz .LBB19_211
; %bb.210:
	v_and_b32_e32 v5, 0x7fffff, v3
	v_or_b32_e32 v14, 0x800000, v5
	s_mov_b32 s0, 0xfe5163ab
	v_mad_u64_u32 v[5:6], s[0:1], v14, s0, 0
	v_mov_b32_e32 v7, 0
	s_mov_b32 s0, 0x3c439041
	v_mad_u64_u32 v[8:9], s[0:1], v14, s0, v[6:7]
	s_mov_b32 s0, 0xdb629599
	v_not_b32_e32 v13, 63
	v_mov_b32_e32 v6, v9
	v_mad_u64_u32 v[9:10], s[0:1], v14, s0, v[6:7]
	s_mov_b32 s0, 0xf534ddc0
	v_not_b32_e32 v16, 31
	v_mov_b32_e32 v6, v10
	v_mad_u64_u32 v[10:11], s[0:1], v14, s0, v[6:7]
	v_lshrrev_b32_e32 v6, 23, v3
	v_add_u32_e32 v15, 0xffffff88, v6
	v_mov_b32_e32 v6, v11
	s_mov_b32 s0, 0xfc2757d1
	v_mad_u64_u32 v[11:12], s[0:1], v14, s0, v[6:7]
	v_cmp_lt_u32_e32 vcc, 63, v15
	v_cndmask_b32_e32 v6, 0, v13, vcc
	v_add_u32_e32 v15, v6, v15
	v_mov_b32_e32 v6, v12
	s_mov_b32 s0, 0x4e441529
	v_mad_u64_u32 v[12:13], s[0:1], v14, s0, v[6:7]
	v_cmp_lt_u32_e64 s[0:1], 31, v15
	v_cndmask_b32_e64 v6, 0, v16, s[0:1]
	v_add_u32_e32 v15, v6, v15
	v_mov_b32_e32 v6, v13
	s_mov_b32 s2, 0xa2f9836e
	v_mad_u64_u32 v[6:7], s[2:3], v14, s2, v[6:7]
	v_cmp_lt_u32_e64 s[2:3], 31, v15
	v_cndmask_b32_e64 v13, 0, v16, s[2:3]
	v_cndmask_b32_e32 v14, v12, v10, vcc
	v_cndmask_b32_e32 v6, v6, v11, vcc
	;; [unrolled: 1-line block ×3, first 2 shown]
	v_add_u32_e32 v13, v13, v15
	v_cndmask_b32_e64 v15, v6, v14, s[0:1]
	v_cndmask_b32_e64 v6, v7, v6, s[0:1]
	v_cndmask_b32_e32 v7, v11, v9, vcc
	v_cndmask_b32_e64 v11, v14, v7, s[0:1]
	v_cndmask_b32_e64 v6, v6, v15, s[2:3]
	;; [unrolled: 1-line block ×3, first 2 shown]
	v_sub_u32_e32 v14, 32, v13
	v_alignbit_b32 v15, v6, v12, v14
	v_cmp_eq_u32_e64 s[4:5], 0, v13
	v_cndmask_b32_e64 v13, v15, v6, s[4:5]
	v_cndmask_b32_e32 v6, v10, v8, vcc
	v_cndmask_b32_e64 v7, v7, v6, s[0:1]
	v_cndmask_b32_e64 v8, v11, v7, s[2:3]
	v_alignbit_b32 v10, v12, v8, v14
	v_cndmask_b32_e32 v5, v9, v5, vcc
	v_cndmask_b32_e64 v10, v10, v12, s[4:5]
	v_bfe_u32 v15, v13, 29, 1
	v_cndmask_b32_e64 v5, v6, v5, s[0:1]
	v_alignbit_b32 v11, v13, v10, 30
	v_sub_u32_e32 v16, 0, v15
	v_cndmask_b32_e64 v5, v7, v5, s[2:3]
	v_xor_b32_e32 v11, v11, v16
	v_alignbit_b32 v6, v8, v5, v14
	v_cndmask_b32_e64 v6, v6, v8, s[4:5]
	v_ffbh_u32_e32 v8, v11
	v_alignbit_b32 v7, v10, v6, 30
	v_min_u32_e32 v8, 32, v8
	v_alignbit_b32 v5, v6, v5, 30
	v_xor_b32_e32 v7, v7, v16
	v_sub_u32_e32 v9, 31, v8
	v_xor_b32_e32 v5, v5, v16
	v_alignbit_b32 v10, v11, v7, v9
	v_alignbit_b32 v5, v7, v5, v9
	;; [unrolled: 1-line block ×3, first 2 shown]
	v_ffbh_u32_e32 v7, v6
	v_min_u32_e32 v7, 32, v7
	v_lshrrev_b32_e32 v12, 29, v13
	v_not_b32_e32 v9, v7
	v_alignbit_b32 v5, v6, v5, v9
	v_lshlrev_b32_e32 v6, 31, v12
	v_or_b32_e32 v9, 0x33000000, v6
	v_add_lshl_u32 v7, v7, v8, 23
	v_lshrrev_b32_e32 v5, 9, v5
	v_sub_u32_e32 v7, v9, v7
	v_or_b32_e32 v6, 0.5, v6
	v_lshlrev_b32_e32 v8, 23, v8
	v_or_b32_e32 v5, v7, v5
	v_lshrrev_b32_e32 v7, 9, v10
	v_sub_u32_e32 v6, v6, v8
	v_or_b32_e32 v6, v7, v6
	s_mov_b32 s0, 0x3fc90fda
	v_mul_f32_e32 v7, 0x3fc90fda, v6
	v_fma_f32 v8, v6, s0, -v7
	v_fmac_f32_e32 v8, 0x33a22168, v6
	v_fmac_f32_e32 v8, 0x3fc90fda, v5
	v_lshrrev_b32_e32 v5, 30, v13
	v_add_f32_e32 v6, v7, v8
	v_add_u32_e32 v5, v15, v5
	s_andn2_saveexec_b64 s[0:1], s[10:11]
	s_cbranch_execz .LBB19_213
	s_branch .LBB19_212
.LBB19_211:
	s_andn2_saveexec_b64 s[0:1], s[10:11]
	s_cbranch_execz .LBB19_213
.LBB19_212:
	s_mov_b32 s2, 0x3f22f983
	v_mul_f32_e64 v5, |v2|, s2
	v_rndne_f32_e32 v7, v5
	s_mov_b32 s2, 0xbfc90fda
	v_cvt_i32_f32_e32 v5, v7
	v_fma_f32 v6, v7, s2, |v2|
	v_fmac_f32_e32 v6, 0xb3a22168, v7
	v_fmac_f32_e32 v6, 0xa7c234c4, v7
.LBB19_213:
	s_or_b64 exec, exec, s[0:1]
                                        ; implicit-def: $vgpr7
                                        ; implicit-def: $vgpr8
	s_and_saveexec_b64 s[0:1], s[8:9]
	s_xor_b64 s[8:9], exec, s[0:1]
	s_cbranch_execz .LBB19_215
; %bb.214:
	v_and_b32_e32 v7, 0x7fffff, v3
	v_or_b32_e32 v16, 0x800000, v7
	s_mov_b32 s0, 0xfe5163ab
	v_mad_u64_u32 v[7:8], s[0:1], v16, s0, 0
	v_mov_b32_e32 v9, 0
	s_mov_b32 s0, 0x3c439041
	v_mad_u64_u32 v[10:11], s[0:1], v16, s0, v[8:9]
	s_mov_b32 s0, 0xdb629599
	v_not_b32_e32 v15, 63
	v_mov_b32_e32 v8, v11
	v_mad_u64_u32 v[11:12], s[0:1], v16, s0, v[8:9]
	s_mov_b32 s0, 0xf534ddc0
	v_not_b32_e32 v18, 31
	v_mov_b32_e32 v8, v12
	v_mad_u64_u32 v[12:13], s[0:1], v16, s0, v[8:9]
	v_lshrrev_b32_e32 v8, 23, v3
	v_add_u32_e32 v17, 0xffffff88, v8
	v_mov_b32_e32 v8, v13
	s_mov_b32 s0, 0xfc2757d1
	v_mad_u64_u32 v[13:14], s[0:1], v16, s0, v[8:9]
	v_cmp_lt_u32_e32 vcc, 63, v17
	v_cndmask_b32_e32 v8, 0, v15, vcc
	v_add_u32_e32 v17, v8, v17
	v_mov_b32_e32 v8, v14
	s_mov_b32 s0, 0x4e441529
	v_mad_u64_u32 v[14:15], s[0:1], v16, s0, v[8:9]
	v_cmp_lt_u32_e64 s[0:1], 31, v17
	v_cndmask_b32_e64 v8, 0, v18, s[0:1]
	v_add_u32_e32 v17, v8, v17
	v_mov_b32_e32 v8, v15
	s_mov_b32 s2, 0xa2f9836e
	v_mad_u64_u32 v[8:9], s[2:3], v16, s2, v[8:9]
	v_cmp_lt_u32_e64 s[2:3], 31, v17
	v_cndmask_b32_e64 v15, 0, v18, s[2:3]
	v_cndmask_b32_e32 v16, v14, v12, vcc
	v_cndmask_b32_e32 v8, v8, v13, vcc
	;; [unrolled: 1-line block ×3, first 2 shown]
	v_add_u32_e32 v15, v15, v17
	v_cndmask_b32_e64 v17, v8, v16, s[0:1]
	v_cndmask_b32_e64 v8, v9, v8, s[0:1]
	v_cndmask_b32_e32 v9, v13, v11, vcc
	v_cndmask_b32_e64 v13, v16, v9, s[0:1]
	v_cndmask_b32_e64 v8, v8, v17, s[2:3]
	;; [unrolled: 1-line block ×3, first 2 shown]
	v_sub_u32_e32 v16, 32, v15
	v_alignbit_b32 v17, v8, v14, v16
	v_cmp_eq_u32_e64 s[4:5], 0, v15
	v_cndmask_b32_e64 v15, v17, v8, s[4:5]
	v_cndmask_b32_e32 v8, v12, v10, vcc
	v_cndmask_b32_e64 v9, v9, v8, s[0:1]
	v_cndmask_b32_e64 v10, v13, v9, s[2:3]
	v_alignbit_b32 v12, v14, v10, v16
	v_cndmask_b32_e32 v7, v11, v7, vcc
	v_cndmask_b32_e64 v12, v12, v14, s[4:5]
	v_bfe_u32 v17, v15, 29, 1
	v_cndmask_b32_e64 v7, v8, v7, s[0:1]
	v_alignbit_b32 v13, v15, v12, 30
	v_sub_u32_e32 v18, 0, v17
	v_cndmask_b32_e64 v7, v9, v7, s[2:3]
	v_xor_b32_e32 v13, v13, v18
	v_alignbit_b32 v8, v10, v7, v16
	v_cndmask_b32_e64 v8, v8, v10, s[4:5]
	v_ffbh_u32_e32 v10, v13
	v_alignbit_b32 v9, v12, v8, 30
	v_min_u32_e32 v10, 32, v10
	v_alignbit_b32 v7, v8, v7, 30
	v_xor_b32_e32 v9, v9, v18
	v_sub_u32_e32 v11, 31, v10
	v_xor_b32_e32 v7, v7, v18
	v_alignbit_b32 v12, v13, v9, v11
	v_alignbit_b32 v7, v9, v7, v11
	;; [unrolled: 1-line block ×3, first 2 shown]
	v_ffbh_u32_e32 v9, v8
	v_min_u32_e32 v9, 32, v9
	v_lshrrev_b32_e32 v14, 29, v15
	v_not_b32_e32 v11, v9
	v_alignbit_b32 v7, v8, v7, v11
	v_lshlrev_b32_e32 v8, 31, v14
	v_or_b32_e32 v11, 0x33000000, v8
	v_add_lshl_u32 v9, v9, v10, 23
	v_lshrrev_b32_e32 v7, 9, v7
	v_sub_u32_e32 v9, v11, v9
	v_or_b32_e32 v8, 0.5, v8
	v_lshlrev_b32_e32 v10, 23, v10
	v_or_b32_e32 v7, v9, v7
	v_lshrrev_b32_e32 v9, 9, v12
	v_sub_u32_e32 v8, v8, v10
	v_or_b32_e32 v8, v9, v8
	s_mov_b32 s0, 0x3fc90fda
	v_mul_f32_e32 v9, 0x3fc90fda, v8
	v_fma_f32 v10, v8, s0, -v9
	v_fmac_f32_e32 v10, 0x33a22168, v8
	v_fmac_f32_e32 v10, 0x3fc90fda, v7
	v_lshrrev_b32_e32 v7, 30, v15
	v_add_f32_e32 v8, v9, v10
	v_add_u32_e32 v7, v17, v7
	s_andn2_saveexec_b64 s[0:1], s[8:9]
	s_cbranch_execnz .LBB19_216
	s_branch .LBB19_217
.LBB19_215:
	s_andn2_saveexec_b64 s[0:1], s[8:9]
	s_cbranch_execz .LBB19_217
.LBB19_216:
	s_mov_b32 s2, 0x3f22f983
	v_mul_f32_e64 v7, |v2|, s2
	v_rndne_f32_e32 v9, v7
	s_mov_b32 s2, 0xbfc90fda
	v_cvt_i32_f32_e32 v7, v9
	v_fma_f32 v8, v9, s2, |v2|
	v_fmac_f32_e32 v8, 0xb3a22168, v9
	v_fmac_f32_e32 v8, 0xa7c234c4, v9
.LBB19_217:
	s_or_b64 exec, exec, s[0:1]
	v_mul_f32_e32 v9, v1, v1
	s_mov_b32 s2, 0x41c80000
	v_div_scale_f32 v10, s[0:1], v9, v9, s2
	v_div_scale_f32 v11, vcc, s2, v9, s2
	v_mov_b32_e32 v12, 0x3a50e985
	v_mov_b32_e32 v14, 0x3da9a586
	;; [unrolled: 1-line block ×12, first 2 shown]
	v_rcp_f32_e32 v13, v10
	v_mov_b32_e32 v27, 0xc331ae61
	v_mov_b32_e32 v28, 0xc31313d7
	;; [unrolled: 1-line block ×3, first 2 shown]
	v_fma_f32 v17, -v10, v13, 1.0
	v_fmac_f32_e32 v13, v17, v13
	v_mul_f32_e32 v17, v11, v13
	v_fma_f32 v18, -v10, v17, v11
	v_fmac_f32_e32 v17, v18, v13
	v_fma_f32 v10, -v10, v17, v11
	v_div_fmas_f32 v10, v10, v13, v17
	v_mov_b32_e32 v17, 0x3a725406
	v_mov_b32_e32 v18, 0x3daf5e2d
	;; [unrolled: 1-line block ×6, first 2 shown]
	v_xor_b32_e32 v3, v3, v2
	v_mov_b32_e32 v30, 0x3c0881c4
	v_div_fixup_f32 v10, v10, v9, s2
	v_fmac_f32_e32 v12, 0, v10
	v_fmac_f32_e32 v17, 0, v10
	v_fmac_f32_e32 v14, v10, v12
	v_fmac_f32_e32 v18, v10, v17
	v_fmac_f32_e32 v15, v10, v14
	v_fmac_f32_e32 v19, v10, v18
	v_fmac_f32_e32 v16, v10, v15
	v_fmac_f32_e32 v20, v10, v19
	v_fmac_f32_e32 v11, v10, v16
	v_fmac_f32_e32 v21, v10, v20
	v_fmac_f32_e32 v13, v10, v11
	v_fmac_f32_e32 v22, v10, v21
	v_fma_f32 v11, v10, v22, 1.0
	v_fma_f32 v12, v10, v13, 1.0
	v_div_scale_f32 v13, s[0:1], v11, v11, v12
	v_div_scale_f32 v17, vcc, v12, v11, v12
	v_mov_b32_e32 v14, 0x4280a2ba
	s_mov_b32 s2, 0x40a00000
	v_fmac_f32_e32 v23, 0, v10
	v_mov_b32_e32 v15, 0x44561b86
	v_div_scale_f32 v34, s[0:1], v1, v1, s2
	v_fmac_f32_e32 v14, 0, v10
	v_fmac_f32_e32 v24, v10, v23
	v_mov_b32_e32 v16, 0x4572a66e
	v_fmac_f32_e32 v15, v10, v14
	v_fmac_f32_e32 v25, v10, v24
	v_mov_b32_e32 v18, 0x45e243be
	v_rcp_f32_e32 v33, v13
	v_fmac_f32_e32 v16, v10, v15
	v_fmac_f32_e32 v26, v10, v25
	v_mov_b32_e32 v19, 0x45b955d1
	v_fma_f32 v35, -v13, v33, 1.0
	v_fmac_f32_e32 v33, v35, v33
	v_mul_f32_e32 v35, v17, v33
	v_fma_f32 v36, -v13, v35, v17
	v_fmac_f32_e32 v35, v36, v33
	v_fma_f32 v13, -v13, v35, v17
	v_div_fmas_f32 v13, v13, v33, v35
	v_fmac_f32_e32 v18, v10, v16
	v_fmac_f32_e32 v27, v10, v26
	v_mov_b32_e32 v20, 0x4500e17e
	v_fmac_f32_e32 v19, v10, v18
	v_fmac_f32_e32 v28, v10, v27
	v_mov_b32_e32 v9, 0xc0c19ac7
	v_mov_b32_e32 v21, 0x43720178
	v_fmac_f32_e32 v20, v10, v19
	v_fmac_f32_e32 v29, v10, v28
	;; [unrolled: 1-line block ×4, first 2 shown]
	v_rcp_f32_e32 v16, v34
	v_mul_f32_e32 v22, v6, v6
	v_mov_b32_e32 v14, 0xbab64f3b
	v_fmac_f32_e32 v31, 0xb94c1982, v22
	v_div_fixup_f32 v10, v13, v11, v12
	v_div_scale_f32 v12, vcc, s2, v1, s2
	v_div_scale_f32 v13, s[0:1], v21, v21, v9
	v_div_scale_f32 v15, s[0:1], v9, v21, v9
	v_fma_f32 v19, -v34, v16, 1.0
	v_fmac_f32_e32 v16, v19, v16
	v_fmac_f32_e32 v14, 0x37d75334, v22
	v_mov_b32_e32 v17, 0x3d2aabf7
	v_fma_f32 v11, v22, v31, v32
	v_fma_f32 v14, v22, v14, v17
	v_mov_b32_e32 v18, 0xbf000004
	v_mul_f32_e32 v11, v22, v11
	v_fma_f32 v14, v22, v14, v18
	v_fmac_f32_e32 v6, v6, v11
	v_mul_f32_e32 v19, v12, v16
	v_fma_f32 v20, -v34, v19, v12
	v_fmac_f32_e32 v19, v20, v16
	v_rcp_f32_e32 v20, v13
	v_fma_f32 v12, -v34, v19, v12
	v_div_fmas_f32 v12, v12, v16, v19
	s_mov_b64 vcc, s[0:1]
	v_fma_f32 v16, -v13, v20, 1.0
	v_fmac_f32_e32 v20, v16, v20
	v_mul_f32_e32 v16, v15, v20
	v_fma_f32 v19, -v13, v16, v15
	v_fmac_f32_e32 v16, v19, v20
	v_fma_f32 v13, -v13, v16, v15
	v_div_fmas_f32 v13, v13, v20, v16
	v_and_b32_e32 v15, 1, v5
	v_lshlrev_b32_e32 v5, 30, v5
	v_fma_f32 v14, v22, v14, 1.0
	v_cmp_eq_u32_e32 vcc, 0, v15
	v_and_b32_e32 v5, 0x80000000, v5
	v_cndmask_b32_e32 v6, v14, v6, vcc
	v_xor_b32_e32 v3, v3, v5
	s_movk_i32 s0, 0x1f8
	v_xor_b32_e32 v3, v3, v6
	v_mov_b32_e32 v5, 0x7fc00000
	v_cmp_class_f32_e64 vcc, v2, s0
	v_cndmask_b32_e32 v2, v5, v3, vcc
	v_div_fixup_f32 v3, v12, v1, s2
	v_mov_b32_e32 v11, 0xbab64f3b
	v_div_fixup_f32 v6, v13, v21, v9
	v_mul_f32_e32 v3, v3, v6
	v_mul_f32_e32 v6, v8, v8
	v_fmac_f32_e32 v30, 0xb94c1982, v6
	v_fmac_f32_e32 v32, v6, v30
	;; [unrolled: 1-line block ×3, first 2 shown]
	v_mul_f32_e32 v9, v6, v32
	v_fmac_f32_e32 v17, v6, v11
	v_fmac_f32_e32 v8, v8, v9
	;; [unrolled: 1-line block ×3, first 2 shown]
	v_and_b32_e32 v9, 1, v7
	v_fma_f32 v6, v6, v18, 1.0
	v_cmp_eq_u32_e64 s[0:1], 0, v9
	v_lshlrev_b32_e32 v7, 30, v7
	v_cndmask_b32_e64 v6, -v8, v6, s[0:1]
	v_and_b32_e32 v7, 0x80000000, v7
	v_xor_b32_e32 v6, v7, v6
	s_mov_b32 s0, 0xf800000
	v_cndmask_b32_e32 v5, v5, v6, vcc
	v_mul_f32_e32 v6, 0x4f800000, v1
	v_cmp_gt_f32_e32 vcc, s0, v1
	v_cndmask_b32_e32 v1, v1, v6, vcc
	v_sqrt_f32_e32 v6, v1
	v_mul_f32_e32 v3, v3, v5
	v_fmac_f32_e32 v3, v10, v2
	v_mul_f32_e32 v2, 0x3f4c422a, v3
	v_add_u32_e32 v3, -1, v6
	v_fma_f32 v5, -v3, v6, v1
	v_cmp_ge_f32_e64 s[0:1], 0, v5
	v_add_u32_e32 v5, 1, v6
	v_cndmask_b32_e64 v3, v6, v3, s[0:1]
	v_fma_f32 v6, -v5, v6, v1
	v_cmp_lt_f32_e64 s[0:1], 0, v6
	v_cndmask_b32_e64 v3, v3, v5, s[0:1]
	v_mul_f32_e32 v5, 0x37800000, v3
	v_cndmask_b32_e32 v3, v3, v5, vcc
	v_mov_b32_e32 v5, 0x260
	v_cmp_class_f32_e32 vcc, v1, v5
	v_cndmask_b32_e32 v1, v3, v1, vcc
	v_div_scale_f32 v3, s[0:1], v1, v1, v2
	v_div_scale_f32 v5, vcc, v2, v1, v2
	v_rcp_f32_e32 v6, v3
	v_fma_f32 v7, -v3, v6, 1.0
	v_fmac_f32_e32 v6, v7, v6
	v_mul_f32_e32 v7, v5, v6
	v_fma_f32 v8, -v3, v7, v5
	v_fmac_f32_e32 v7, v8, v6
	v_fma_f32 v3, -v3, v7, v5
	v_div_fmas_f32 v3, v3, v6, v7
	v_div_fixup_f32 v2, v3, v1, v2
.LBB19_218:
	s_or_b64 exec, exec, s[6:7]
	v_add_u32_e32 v4, 0x80, v4
	global_store_dword v0, v2, s[16:17]
	s_or_b64 exec, exec, s[48:49]
	v_cmp_gt_i32_e32 vcc, s55, v4
	s_and_saveexec_b64 s[48:49], vcc
	s_cbranch_execnz .LBB19_184
.LBB19_219:
	s_or_b64 exec, exec, s[48:49]
	v_cmp_gt_i32_e32 vcc, s55, v4
	s_and_saveexec_b64 s[48:49], vcc
	s_cbranch_execnz .LBB19_250
.LBB19_220:
	s_or_b64 exec, exec, s[48:49]
                                        ; implicit-def: $vgpr13
                                        ; implicit-def: $vgpr4
	s_andn2_saveexec_b64 s[0:1], s[38:39]
	s_cbranch_execnz .LBB19_8
.LBB19_221:
	s_endpgm
.LBB19_222:
	s_mov_b32 s57, 0
	v_mov_b32_e32 v0, 0
	v_mov_b32_e32 v2, 0
	v_mov_b32_e32 v1, v4
.LBB19_223:
	s_and_b32 s4, s58, 3
	s_cmp_eq_u32 s4, 0
	s_cbranch_scc1 .LBB19_226
; %bb.224:
	s_lshl_b32 s0, s57, 3
	s_add_u32 s0, s34, s0
	s_addc_u32 s1, s35, 0
	s_add_u32 s0, s0, 0xc4
	s_addc_u32 s1, s1, 0
	s_mul_i32 s2, s57, 12
	s_add_u32 s2, s34, s2
	s_addc_u32 s3, s35, 0
.LBB19_225:                             ; =>This Inner Loop Header: Depth=1
	s_load_dwordx2 s[6:7], s[2:3], 0x4
	s_load_dword s5, s[2:3], 0xc
	s_load_dwordx2 s[8:9], s[0:1], 0x0
	s_add_u32 s2, s2, 12
	s_addc_u32 s3, s3, 0
	s_waitcnt lgkmcnt(0)
	v_mul_hi_u32 v3, s7, v1
	s_add_u32 s0, s0, 8
	s_addc_u32 s1, s1, 0
	s_add_i32 s4, s4, -1
	v_add_u32_e32 v3, v1, v3
	v_lshrrev_b32_e32 v5, s5, v3
	v_mul_lo_u32 v3, v5, s6
	s_cmp_lg_u32 s4, 0
	v_sub_u32_e32 v3, v1, v3
	v_mad_u64_u32 v[0:1], s[6:7], v3, s8, v[0:1]
	v_mad_u64_u32 v[2:3], s[6:7], v3, s9, v[2:3]
	v_mov_b32_e32 v1, v5
	s_cbranch_scc1 .LBB19_225
.LBB19_226:
	s_cbranch_execnz .LBB19_229
.LBB19_227:
	s_waitcnt lgkmcnt(0)
	v_mul_hi_u32 v0, s25, v4
	s_andn2_b64 vcc, exec, s[42:43]
	v_add_u32_e32 v0, v4, v0
	v_lshrrev_b32_e32 v1, s26, v0
	v_mul_lo_u32 v0, v1, s24
	v_sub_u32_e32 v2, v4, v0
	v_mul_lo_u32 v0, v2, s20
	v_mul_lo_u32 v2, v2, s21
	s_cbranch_vccnz .LBB19_229
; %bb.228:
	v_mul_hi_u32 v3, s40, v1
	v_add_u32_e32 v3, v1, v3
	v_lshrrev_b32_e32 v3, s41, v3
	v_mul_lo_u32 v3, v3, s27
	v_sub_u32_e32 v3, v1, v3
	v_mad_u64_u32 v[0:1], s[0:1], v3, s22, v[0:1]
	v_mad_u64_u32 v[2:3], s[0:1], v3, s23, v[2:3]
.LBB19_229:
	s_waitcnt lgkmcnt(0)
	global_load_dword v1, v2, s[18:19]
	s_mov_b32 s0, 0x40a00000
                                        ; implicit-def: $vgpr2
	s_waitcnt vmcnt(0)
	v_cmp_ge_f32_e32 vcc, s0, v1
	s_and_saveexec_b64 s[0:1], vcc
	s_xor_b64 s[2:3], exec, s[0:1]
	s_cbranch_execz .LBB19_239
; %bb.230:
	v_cmp_neq_f32_e32 vcc, 0, v1
	v_mov_b32_e32 v2, 0xff800000
	s_and_saveexec_b64 s[4:5], vcc
	s_cbranch_execz .LBB19_238
; %bb.231:
	v_cmp_ngt_f32_e32 vcc, 0, v1
	v_mov_b32_e32 v2, 0x7fc00000
	s_and_saveexec_b64 s[6:7], vcc
	s_cbranch_execz .LBB19_237
; %bb.232:
	v_mul_f32_e32 v2, v1, v1
	s_mov_b32 s0, 0x3727c5ac
	v_mul_f32_e32 v5, 0, v2
	v_cmp_ngt_f32_e32 vcc, s0, v1
                                        ; implicit-def: $vgpr3
	s_and_saveexec_b64 s[0:1], vcc
	s_xor_b64 s[0:1], exec, s[0:1]
	s_cbranch_execz .LBB19_234
; %bb.233:
	v_add_f32_e32 v3, 0xcf8ee29d, v5
	v_mov_b32_e32 v6, 0x53e3ba8e
	v_fmac_f32_e32 v6, v2, v3
	v_mov_b32_e32 v3, 0xd762b0a7
	v_fmac_f32_e32 v3, v2, v6
	v_add_f32_e32 v6, 0x43f9c815, v5
	v_mov_b32_e32 v7, 0x4829b65a
	v_fmac_f32_e32 v7, v2, v6
	v_mov_b32_e32 v6, 0x4c38c9a1
	v_fmac_f32_e32 v6, v2, v7
	;; [unrolled: 2-line block ×8, first 2 shown]
	v_add_f32_e32 v3, 0xc0b90fdc, v2
	v_add_f32_e32 v8, 0xc1f3c525, v2
	v_mul_f32_e32 v3, v3, v8
	v_mul_f32_e32 v3, v3, v6
	v_div_scale_f32 v6, s[8:9], v7, v7, v3
	v_div_scale_f32 v8, vcc, v3, v7, v3
	v_rcp_f32_e32 v9, v6
	v_fma_f32 v10, -v6, v9, 1.0
	v_fmac_f32_e32 v9, v10, v9
	v_mul_f32_e32 v10, v8, v9
	v_fma_f32 v11, -v6, v10, v8
	v_fmac_f32_e32 v10, v11, v9
	v_fma_f32 v6, -v6, v10, v8
	v_div_fmas_f32 v6, v6, v9, v10
	v_div_fixup_f32 v3, v6, v7, v3
.LBB19_234:
	s_andn2_saveexec_b64 s[0:1], s[0:1]
; %bb.235:
	s_mov_b32 s8, 0xbe800000
	v_fma_f32 v3, v2, s8, 1.0
; %bb.236:
	s_or_b64 exec, exec, s[0:1]
	v_add_f32_e32 v6, 0x4673a1bf, v5
	v_mov_b32_e32 v7, 0xcb5fc0fa
	v_fmac_f32_e32 v7, v2, v6
	v_mov_b32_e32 v6, 0x4fa1fbc8
	v_fmac_f32_e32 v6, v2, v7
	;; [unrolled: 2-line block ×6, first 2 shown]
	v_add_f32_e32 v5, 0x44822913, v5
	v_mov_b32_e32 v7, 0x4918dbb5
	v_fmac_f32_e32 v7, v2, v5
	v_mov_b32_e32 v5, 0x4d803b1b
	v_fmac_f32_e32 v5, v2, v7
	;; [unrolled: 2-line block ×7, first 2 shown]
	v_div_scale_f32 v2, s[0:1], v5, v5, v7
	v_div_scale_f32 v6, vcc, v7, v5, v7
	s_mov_b32 s0, 0x800000
	v_rcp_f32_e32 v8, v2
	v_fma_f32 v9, -v2, v8, 1.0
	v_fmac_f32_e32 v8, v9, v8
	v_mul_f32_e32 v9, v6, v8
	v_fma_f32 v10, -v2, v9, v6
	v_fmac_f32_e32 v9, v10, v8
	v_fma_f32 v2, -v2, v9, v6
	v_div_fmas_f32 v2, v2, v8, v9
	v_cmp_gt_f32_e32 vcc, s0, v1
	v_cndmask_b32_e64 v6, 0, 32, vcc
	v_ldexp_f32 v1, v1, v6
	v_log_f32_e32 v1, v1
	s_mov_b32 s0, 0x3f317217
	v_mul_f32_e32 v6, 0x3f317217, v1
	v_fma_f32 v6, v1, s0, -v6
	v_fmac_f32_e32 v6, 0x3377d1cf, v1
	s_mov_b32 s0, 0x7f800000
	v_fmac_f32_e32 v6, 0x3f317217, v1
	v_cmp_lt_f32_e64 s[0:1], |v1|, s0
	v_cndmask_b32_e64 v1, v1, v6, s[0:1]
	v_div_fixup_f32 v2, v2, v5, v7
	v_mov_b32_e32 v5, 0x41b17218
	v_cndmask_b32_e32 v5, 0, v5, vcc
	v_sub_f32_e32 v1, v1, v5
	v_mul_f32_e32 v1, 0x3f22f983, v1
	v_fmac_f32_e32 v2, v1, v3
.LBB19_237:
	s_or_b64 exec, exec, s[6:7]
.LBB19_238:
	s_or_b64 exec, exec, s[4:5]
                                        ; implicit-def: $vgpr1
.LBB19_239:
	s_andn2_saveexec_b64 s[6:7], s[2:3]
	s_cbranch_execz .LBB19_249
; %bb.240:
	v_add_f32_e32 v2, 0xbf490fdb, v1
	s_brev_b32 s0, 18
	v_and_b32_e32 v3, 0x7fffffff, v2
	v_cmp_nlt_f32_e64 s[8:9], |v2|, s0
                                        ; implicit-def: $vgpr5
                                        ; implicit-def: $vgpr6
	s_and_saveexec_b64 s[0:1], s[8:9]
	s_xor_b64 s[10:11], exec, s[0:1]
	s_cbranch_execz .LBB19_242
; %bb.241:
	v_and_b32_e32 v5, 0x7fffff, v3
	v_or_b32_e32 v14, 0x800000, v5
	s_mov_b32 s0, 0xfe5163ab
	v_mad_u64_u32 v[5:6], s[0:1], v14, s0, 0
	v_mov_b32_e32 v7, 0
	s_mov_b32 s0, 0x3c439041
	v_mad_u64_u32 v[8:9], s[0:1], v14, s0, v[6:7]
	s_mov_b32 s0, 0xdb629599
	v_not_b32_e32 v13, 63
	v_mov_b32_e32 v6, v9
	v_mad_u64_u32 v[9:10], s[0:1], v14, s0, v[6:7]
	s_mov_b32 s0, 0xf534ddc0
	v_not_b32_e32 v16, 31
	v_mov_b32_e32 v6, v10
	v_mad_u64_u32 v[10:11], s[0:1], v14, s0, v[6:7]
	v_lshrrev_b32_e32 v6, 23, v3
	v_add_u32_e32 v15, 0xffffff88, v6
	v_mov_b32_e32 v6, v11
	s_mov_b32 s0, 0xfc2757d1
	v_mad_u64_u32 v[11:12], s[0:1], v14, s0, v[6:7]
	v_cmp_lt_u32_e32 vcc, 63, v15
	v_cndmask_b32_e32 v6, 0, v13, vcc
	v_add_u32_e32 v15, v6, v15
	v_mov_b32_e32 v6, v12
	s_mov_b32 s0, 0x4e441529
	v_mad_u64_u32 v[12:13], s[0:1], v14, s0, v[6:7]
	v_cmp_lt_u32_e64 s[0:1], 31, v15
	v_cndmask_b32_e64 v6, 0, v16, s[0:1]
	v_add_u32_e32 v15, v6, v15
	v_mov_b32_e32 v6, v13
	s_mov_b32 s2, 0xa2f9836e
	v_mad_u64_u32 v[6:7], s[2:3], v14, s2, v[6:7]
	v_cmp_lt_u32_e64 s[2:3], 31, v15
	v_cndmask_b32_e64 v13, 0, v16, s[2:3]
	v_cndmask_b32_e32 v14, v12, v10, vcc
	v_cndmask_b32_e32 v6, v6, v11, vcc
	v_cndmask_b32_e32 v7, v7, v12, vcc
	v_add_u32_e32 v13, v13, v15
	v_cndmask_b32_e64 v15, v6, v14, s[0:1]
	v_cndmask_b32_e64 v6, v7, v6, s[0:1]
	v_cndmask_b32_e32 v7, v11, v9, vcc
	v_cndmask_b32_e64 v11, v14, v7, s[0:1]
	v_cndmask_b32_e64 v6, v6, v15, s[2:3]
	;; [unrolled: 1-line block ×3, first 2 shown]
	v_sub_u32_e32 v14, 32, v13
	v_alignbit_b32 v15, v6, v12, v14
	v_cmp_eq_u32_e64 s[4:5], 0, v13
	v_cndmask_b32_e64 v13, v15, v6, s[4:5]
	v_cndmask_b32_e32 v6, v10, v8, vcc
	v_cndmask_b32_e64 v7, v7, v6, s[0:1]
	v_cndmask_b32_e64 v8, v11, v7, s[2:3]
	v_alignbit_b32 v10, v12, v8, v14
	v_cndmask_b32_e32 v5, v9, v5, vcc
	v_cndmask_b32_e64 v10, v10, v12, s[4:5]
	v_bfe_u32 v15, v13, 29, 1
	v_cndmask_b32_e64 v5, v6, v5, s[0:1]
	v_alignbit_b32 v11, v13, v10, 30
	v_sub_u32_e32 v16, 0, v15
	v_cndmask_b32_e64 v5, v7, v5, s[2:3]
	v_xor_b32_e32 v11, v11, v16
	v_alignbit_b32 v6, v8, v5, v14
	v_cndmask_b32_e64 v6, v6, v8, s[4:5]
	v_ffbh_u32_e32 v8, v11
	v_alignbit_b32 v7, v10, v6, 30
	v_min_u32_e32 v8, 32, v8
	v_alignbit_b32 v5, v6, v5, 30
	v_xor_b32_e32 v7, v7, v16
	v_sub_u32_e32 v9, 31, v8
	v_xor_b32_e32 v5, v5, v16
	v_alignbit_b32 v10, v11, v7, v9
	v_alignbit_b32 v5, v7, v5, v9
	;; [unrolled: 1-line block ×3, first 2 shown]
	v_ffbh_u32_e32 v7, v6
	v_min_u32_e32 v7, 32, v7
	v_lshrrev_b32_e32 v12, 29, v13
	v_not_b32_e32 v9, v7
	v_alignbit_b32 v5, v6, v5, v9
	v_lshlrev_b32_e32 v6, 31, v12
	v_or_b32_e32 v9, 0x33000000, v6
	v_add_lshl_u32 v7, v7, v8, 23
	v_lshrrev_b32_e32 v5, 9, v5
	v_sub_u32_e32 v7, v9, v7
	v_or_b32_e32 v6, 0.5, v6
	v_lshlrev_b32_e32 v8, 23, v8
	v_or_b32_e32 v5, v7, v5
	v_lshrrev_b32_e32 v7, 9, v10
	v_sub_u32_e32 v6, v6, v8
	v_or_b32_e32 v6, v7, v6
	s_mov_b32 s0, 0x3fc90fda
	v_mul_f32_e32 v7, 0x3fc90fda, v6
	v_fma_f32 v8, v6, s0, -v7
	v_fmac_f32_e32 v8, 0x33a22168, v6
	v_fmac_f32_e32 v8, 0x3fc90fda, v5
	v_lshrrev_b32_e32 v5, 30, v13
	v_add_f32_e32 v6, v7, v8
	v_add_u32_e32 v5, v15, v5
	s_andn2_saveexec_b64 s[0:1], s[10:11]
	s_cbranch_execz .LBB19_244
	s_branch .LBB19_243
.LBB19_242:
	s_andn2_saveexec_b64 s[0:1], s[10:11]
	s_cbranch_execz .LBB19_244
.LBB19_243:
	s_mov_b32 s2, 0x3f22f983
	v_mul_f32_e64 v5, |v2|, s2
	v_rndne_f32_e32 v7, v5
	s_mov_b32 s2, 0xbfc90fda
	v_cvt_i32_f32_e32 v5, v7
	v_fma_f32 v6, v7, s2, |v2|
	v_fmac_f32_e32 v6, 0xb3a22168, v7
	v_fmac_f32_e32 v6, 0xa7c234c4, v7
.LBB19_244:
	s_or_b64 exec, exec, s[0:1]
                                        ; implicit-def: $vgpr7
                                        ; implicit-def: $vgpr8
	s_and_saveexec_b64 s[0:1], s[8:9]
	s_xor_b64 s[8:9], exec, s[0:1]
	s_cbranch_execz .LBB19_246
; %bb.245:
	v_and_b32_e32 v7, 0x7fffff, v3
	v_or_b32_e32 v16, 0x800000, v7
	s_mov_b32 s0, 0xfe5163ab
	v_mad_u64_u32 v[7:8], s[0:1], v16, s0, 0
	v_mov_b32_e32 v9, 0
	s_mov_b32 s0, 0x3c439041
	v_mad_u64_u32 v[10:11], s[0:1], v16, s0, v[8:9]
	s_mov_b32 s0, 0xdb629599
	v_not_b32_e32 v15, 63
	v_mov_b32_e32 v8, v11
	v_mad_u64_u32 v[11:12], s[0:1], v16, s0, v[8:9]
	s_mov_b32 s0, 0xf534ddc0
	v_not_b32_e32 v18, 31
	v_mov_b32_e32 v8, v12
	v_mad_u64_u32 v[12:13], s[0:1], v16, s0, v[8:9]
	v_lshrrev_b32_e32 v8, 23, v3
	v_add_u32_e32 v17, 0xffffff88, v8
	v_mov_b32_e32 v8, v13
	s_mov_b32 s0, 0xfc2757d1
	v_mad_u64_u32 v[13:14], s[0:1], v16, s0, v[8:9]
	v_cmp_lt_u32_e32 vcc, 63, v17
	v_cndmask_b32_e32 v8, 0, v15, vcc
	v_add_u32_e32 v17, v8, v17
	v_mov_b32_e32 v8, v14
	s_mov_b32 s0, 0x4e441529
	v_mad_u64_u32 v[14:15], s[0:1], v16, s0, v[8:9]
	v_cmp_lt_u32_e64 s[0:1], 31, v17
	v_cndmask_b32_e64 v8, 0, v18, s[0:1]
	v_add_u32_e32 v17, v8, v17
	v_mov_b32_e32 v8, v15
	s_mov_b32 s2, 0xa2f9836e
	v_mad_u64_u32 v[8:9], s[2:3], v16, s2, v[8:9]
	v_cmp_lt_u32_e64 s[2:3], 31, v17
	v_cndmask_b32_e64 v15, 0, v18, s[2:3]
	v_cndmask_b32_e32 v16, v14, v12, vcc
	v_cndmask_b32_e32 v8, v8, v13, vcc
	;; [unrolled: 1-line block ×3, first 2 shown]
	v_add_u32_e32 v15, v15, v17
	v_cndmask_b32_e64 v17, v8, v16, s[0:1]
	v_cndmask_b32_e64 v8, v9, v8, s[0:1]
	v_cndmask_b32_e32 v9, v13, v11, vcc
	v_cndmask_b32_e64 v13, v16, v9, s[0:1]
	v_cndmask_b32_e64 v8, v8, v17, s[2:3]
	;; [unrolled: 1-line block ×3, first 2 shown]
	v_sub_u32_e32 v16, 32, v15
	v_alignbit_b32 v17, v8, v14, v16
	v_cmp_eq_u32_e64 s[4:5], 0, v15
	v_cndmask_b32_e64 v15, v17, v8, s[4:5]
	v_cndmask_b32_e32 v8, v12, v10, vcc
	v_cndmask_b32_e64 v9, v9, v8, s[0:1]
	v_cndmask_b32_e64 v10, v13, v9, s[2:3]
	v_alignbit_b32 v12, v14, v10, v16
	v_cndmask_b32_e32 v7, v11, v7, vcc
	v_cndmask_b32_e64 v12, v12, v14, s[4:5]
	v_bfe_u32 v17, v15, 29, 1
	v_cndmask_b32_e64 v7, v8, v7, s[0:1]
	v_alignbit_b32 v13, v15, v12, 30
	v_sub_u32_e32 v18, 0, v17
	v_cndmask_b32_e64 v7, v9, v7, s[2:3]
	v_xor_b32_e32 v13, v13, v18
	v_alignbit_b32 v8, v10, v7, v16
	v_cndmask_b32_e64 v8, v8, v10, s[4:5]
	v_ffbh_u32_e32 v10, v13
	v_alignbit_b32 v9, v12, v8, 30
	v_min_u32_e32 v10, 32, v10
	v_alignbit_b32 v7, v8, v7, 30
	v_xor_b32_e32 v9, v9, v18
	v_sub_u32_e32 v11, 31, v10
	v_xor_b32_e32 v7, v7, v18
	v_alignbit_b32 v12, v13, v9, v11
	v_alignbit_b32 v7, v9, v7, v11
	;; [unrolled: 1-line block ×3, first 2 shown]
	v_ffbh_u32_e32 v9, v8
	v_min_u32_e32 v9, 32, v9
	v_lshrrev_b32_e32 v14, 29, v15
	v_not_b32_e32 v11, v9
	v_alignbit_b32 v7, v8, v7, v11
	v_lshlrev_b32_e32 v8, 31, v14
	v_or_b32_e32 v11, 0x33000000, v8
	v_add_lshl_u32 v9, v9, v10, 23
	v_lshrrev_b32_e32 v7, 9, v7
	v_sub_u32_e32 v9, v11, v9
	v_or_b32_e32 v8, 0.5, v8
	v_lshlrev_b32_e32 v10, 23, v10
	v_or_b32_e32 v7, v9, v7
	v_lshrrev_b32_e32 v9, 9, v12
	v_sub_u32_e32 v8, v8, v10
	v_or_b32_e32 v8, v9, v8
	s_mov_b32 s0, 0x3fc90fda
	v_mul_f32_e32 v9, 0x3fc90fda, v8
	v_fma_f32 v10, v8, s0, -v9
	v_fmac_f32_e32 v10, 0x33a22168, v8
	v_fmac_f32_e32 v10, 0x3fc90fda, v7
	v_lshrrev_b32_e32 v7, 30, v15
	v_add_f32_e32 v8, v9, v10
	v_add_u32_e32 v7, v17, v7
	s_andn2_saveexec_b64 s[0:1], s[8:9]
	s_cbranch_execnz .LBB19_247
	s_branch .LBB19_248
.LBB19_246:
	s_andn2_saveexec_b64 s[0:1], s[8:9]
	s_cbranch_execz .LBB19_248
.LBB19_247:
	s_mov_b32 s2, 0x3f22f983
	v_mul_f32_e64 v7, |v2|, s2
	v_rndne_f32_e32 v9, v7
	s_mov_b32 s2, 0xbfc90fda
	v_cvt_i32_f32_e32 v7, v9
	v_fma_f32 v8, v9, s2, |v2|
	v_fmac_f32_e32 v8, 0xb3a22168, v9
	v_fmac_f32_e32 v8, 0xa7c234c4, v9
.LBB19_248:
	s_or_b64 exec, exec, s[0:1]
	v_mul_f32_e32 v9, v1, v1
	s_mov_b32 s2, 0x41c80000
	v_div_scale_f32 v10, s[0:1], v9, v9, s2
	v_div_scale_f32 v11, vcc, s2, v9, s2
	v_mov_b32_e32 v12, 0x3a50e985
	v_mov_b32_e32 v14, 0x3da9a586
	;; [unrolled: 1-line block ×12, first 2 shown]
	v_rcp_f32_e32 v13, v10
	v_mov_b32_e32 v27, 0xc331ae61
	v_mov_b32_e32 v28, 0xc31313d7
	;; [unrolled: 1-line block ×3, first 2 shown]
	v_fma_f32 v17, -v10, v13, 1.0
	v_fmac_f32_e32 v13, v17, v13
	v_mul_f32_e32 v17, v11, v13
	v_fma_f32 v18, -v10, v17, v11
	v_fmac_f32_e32 v17, v18, v13
	v_fma_f32 v10, -v10, v17, v11
	v_div_fmas_f32 v10, v10, v13, v17
	v_mov_b32_e32 v17, 0x3a725406
	v_mov_b32_e32 v18, 0x3daf5e2d
	;; [unrolled: 1-line block ×6, first 2 shown]
	v_xor_b32_e32 v3, v3, v2
	v_mov_b32_e32 v30, 0x3c0881c4
	v_div_fixup_f32 v10, v10, v9, s2
	v_fmac_f32_e32 v12, 0, v10
	v_fmac_f32_e32 v17, 0, v10
	;; [unrolled: 1-line block ×12, first 2 shown]
	v_fma_f32 v11, v10, v22, 1.0
	v_fma_f32 v12, v10, v13, 1.0
	v_div_scale_f32 v13, s[0:1], v11, v11, v12
	v_div_scale_f32 v17, vcc, v12, v11, v12
	v_mov_b32_e32 v14, 0x4280a2ba
	s_mov_b32 s2, 0x40a00000
	v_fmac_f32_e32 v23, 0, v10
	v_mov_b32_e32 v15, 0x44561b86
	v_div_scale_f32 v34, s[0:1], v1, v1, s2
	v_fmac_f32_e32 v14, 0, v10
	v_fmac_f32_e32 v24, v10, v23
	v_mov_b32_e32 v16, 0x4572a66e
	v_fmac_f32_e32 v15, v10, v14
	v_fmac_f32_e32 v25, v10, v24
	v_mov_b32_e32 v18, 0x45e243be
	v_rcp_f32_e32 v33, v13
	v_fmac_f32_e32 v16, v10, v15
	v_fmac_f32_e32 v26, v10, v25
	v_mov_b32_e32 v19, 0x45b955d1
	v_fma_f32 v35, -v13, v33, 1.0
	v_fmac_f32_e32 v33, v35, v33
	v_mul_f32_e32 v35, v17, v33
	v_fma_f32 v36, -v13, v35, v17
	v_fmac_f32_e32 v35, v36, v33
	v_fma_f32 v13, -v13, v35, v17
	v_div_fmas_f32 v13, v13, v33, v35
	v_fmac_f32_e32 v18, v10, v16
	v_fmac_f32_e32 v27, v10, v26
	v_mov_b32_e32 v20, 0x4500e17e
	v_fmac_f32_e32 v19, v10, v18
	v_fmac_f32_e32 v28, v10, v27
	v_mov_b32_e32 v9, 0xc0c19ac7
	v_mov_b32_e32 v21, 0x43720178
	v_fmac_f32_e32 v20, v10, v19
	v_fmac_f32_e32 v29, v10, v28
	;; [unrolled: 1-line block ×4, first 2 shown]
	v_rcp_f32_e32 v16, v34
	v_mul_f32_e32 v22, v6, v6
	v_mov_b32_e32 v14, 0xbab64f3b
	v_fmac_f32_e32 v31, 0xb94c1982, v22
	v_div_fixup_f32 v10, v13, v11, v12
	v_div_scale_f32 v12, vcc, s2, v1, s2
	v_div_scale_f32 v13, s[0:1], v21, v21, v9
	v_div_scale_f32 v15, s[0:1], v9, v21, v9
	v_fma_f32 v19, -v34, v16, 1.0
	v_fmac_f32_e32 v16, v19, v16
	v_fmac_f32_e32 v14, 0x37d75334, v22
	v_mov_b32_e32 v17, 0x3d2aabf7
	v_fma_f32 v11, v22, v31, v32
	v_fma_f32 v14, v22, v14, v17
	v_mov_b32_e32 v18, 0xbf000004
	v_mul_f32_e32 v11, v22, v11
	v_fma_f32 v14, v22, v14, v18
	v_fmac_f32_e32 v6, v6, v11
	v_mul_f32_e32 v19, v12, v16
	v_fma_f32 v20, -v34, v19, v12
	v_fmac_f32_e32 v19, v20, v16
	v_rcp_f32_e32 v20, v13
	v_fma_f32 v12, -v34, v19, v12
	v_div_fmas_f32 v12, v12, v16, v19
	s_mov_b64 vcc, s[0:1]
	v_fma_f32 v16, -v13, v20, 1.0
	v_fmac_f32_e32 v20, v16, v20
	v_mul_f32_e32 v16, v15, v20
	v_fma_f32 v19, -v13, v16, v15
	v_fmac_f32_e32 v16, v19, v20
	v_fma_f32 v13, -v13, v16, v15
	v_div_fmas_f32 v13, v13, v20, v16
	v_and_b32_e32 v15, 1, v5
	v_lshlrev_b32_e32 v5, 30, v5
	v_fma_f32 v14, v22, v14, 1.0
	v_cmp_eq_u32_e32 vcc, 0, v15
	v_and_b32_e32 v5, 0x80000000, v5
	v_cndmask_b32_e32 v6, v14, v6, vcc
	v_xor_b32_e32 v3, v3, v5
	s_movk_i32 s0, 0x1f8
	v_xor_b32_e32 v3, v3, v6
	v_mov_b32_e32 v5, 0x7fc00000
	v_cmp_class_f32_e64 vcc, v2, s0
	v_cndmask_b32_e32 v2, v5, v3, vcc
	v_div_fixup_f32 v3, v12, v1, s2
	v_mov_b32_e32 v11, 0xbab64f3b
	v_div_fixup_f32 v6, v13, v21, v9
	v_mul_f32_e32 v3, v3, v6
	v_mul_f32_e32 v6, v8, v8
	v_fmac_f32_e32 v30, 0xb94c1982, v6
	v_fmac_f32_e32 v32, v6, v30
	;; [unrolled: 1-line block ×3, first 2 shown]
	v_mul_f32_e32 v9, v6, v32
	v_fmac_f32_e32 v17, v6, v11
	v_fmac_f32_e32 v8, v8, v9
	;; [unrolled: 1-line block ×3, first 2 shown]
	v_and_b32_e32 v9, 1, v7
	v_fma_f32 v6, v6, v18, 1.0
	v_cmp_eq_u32_e64 s[0:1], 0, v9
	v_lshlrev_b32_e32 v7, 30, v7
	v_cndmask_b32_e64 v6, -v8, v6, s[0:1]
	v_and_b32_e32 v7, 0x80000000, v7
	v_xor_b32_e32 v6, v7, v6
	s_mov_b32 s0, 0xf800000
	v_cndmask_b32_e32 v5, v5, v6, vcc
	v_mul_f32_e32 v6, 0x4f800000, v1
	v_cmp_gt_f32_e32 vcc, s0, v1
	v_cndmask_b32_e32 v1, v1, v6, vcc
	v_sqrt_f32_e32 v6, v1
	v_mul_f32_e32 v3, v3, v5
	v_fmac_f32_e32 v3, v10, v2
	v_mul_f32_e32 v2, 0x3f4c422a, v3
	v_add_u32_e32 v3, -1, v6
	v_fma_f32 v5, -v3, v6, v1
	v_cmp_ge_f32_e64 s[0:1], 0, v5
	v_add_u32_e32 v5, 1, v6
	v_cndmask_b32_e64 v3, v6, v3, s[0:1]
	v_fma_f32 v6, -v5, v6, v1
	v_cmp_lt_f32_e64 s[0:1], 0, v6
	v_cndmask_b32_e64 v3, v3, v5, s[0:1]
	v_mul_f32_e32 v5, 0x37800000, v3
	v_cndmask_b32_e32 v3, v3, v5, vcc
	v_mov_b32_e32 v5, 0x260
	v_cmp_class_f32_e32 vcc, v1, v5
	v_cndmask_b32_e32 v1, v3, v1, vcc
	v_div_scale_f32 v3, s[0:1], v1, v1, v2
	v_div_scale_f32 v5, vcc, v2, v1, v2
	v_rcp_f32_e32 v6, v3
	v_fma_f32 v7, -v3, v6, 1.0
	v_fmac_f32_e32 v6, v7, v6
	v_mul_f32_e32 v7, v5, v6
	v_fma_f32 v8, -v3, v7, v5
	v_fmac_f32_e32 v7, v8, v6
	v_fma_f32 v3, -v3, v7, v5
	v_div_fmas_f32 v3, v3, v6, v7
	v_div_fixup_f32 v2, v3, v1, v2
.LBB19_249:
	s_or_b64 exec, exec, s[6:7]
	v_add_u32_e32 v4, 0x80, v4
	global_store_dword v0, v2, s[16:17]
	s_or_b64 exec, exec, s[48:49]
	v_cmp_gt_i32_e32 vcc, s55, v4
	s_and_saveexec_b64 s[48:49], vcc
	s_cbranch_execz .LBB19_220
.LBB19_250:
	s_andn2_b64 vcc, exec, s[36:37]
	s_cbranch_vccnz .LBB19_255
; %bb.251:
	s_andn2_b64 vcc, exec, s[46:47]
	s_cbranch_vccnz .LBB19_256
; %bb.252:
	s_add_i32 s56, s56, 1
	s_cmp_eq_u32 s54, 2
	s_cbranch_scc1 .LBB19_257
; %bb.253:
	s_and_b32 s50, s56, 28
	v_mov_b32_e32 v2, 0
	s_mov_b32 s51, 0
	s_mov_b64 s[46:47], s[34:35]
	v_mov_b32_e32 v0, 0
	v_mov_b32_e32 v1, v4
.LBB19_254:                             ; =>This Inner Loop Header: Depth=1
	s_load_dwordx8 s[8:15], s[46:47], 0x4
	s_load_dwordx4 s[28:31], s[46:47], 0x24
	s_load_dwordx8 s[0:7], s[44:45], 0x0
	s_add_u32 s46, s46, 48
	s_addc_u32 s47, s47, 0
	s_waitcnt lgkmcnt(0)
	v_mul_hi_u32 v3, s9, v1
	s_add_i32 s51, s51, 4
	s_add_u32 s44, s44, 32
	s_addc_u32 s45, s45, 0
	v_add_u32_e32 v3, v1, v3
	v_lshrrev_b32_e32 v3, s10, v3
	v_mul_lo_u32 v5, v3, s8
	v_mul_hi_u32 v6, s12, v3
	s_cmp_eq_u32 s50, s51
	v_sub_u32_e32 v1, v1, v5
	v_add_u32_e32 v5, v3, v6
	v_mul_lo_u32 v6, v1, s0
	v_mul_lo_u32 v7, v1, s1
	v_lshrrev_b32_e32 v1, s13, v5
	v_mul_lo_u32 v5, v1, s11
	v_mul_hi_u32 v8, s15, v1
	v_sub_u32_e32 v3, v3, v5
	v_add_u32_e32 v5, v1, v8
	v_lshrrev_b32_e32 v5, s28, v5
	v_mul_hi_u32 v9, s30, v5
	v_mul_lo_u32 v10, v5, s14
	v_mul_lo_u32 v8, v3, s2
	;; [unrolled: 1-line block ×3, first 2 shown]
	v_sub_u32_e32 v10, v1, v10
	v_add_u32_e32 v1, v5, v9
	v_lshrrev_b32_e32 v1, s31, v1
	v_mul_lo_u32 v9, v1, s29
	v_mul_lo_u32 v11, v10, s4
	;; [unrolled: 1-line block ×3, first 2 shown]
	v_add3_u32 v0, v6, v0, v8
	v_sub_u32_e32 v5, v5, v9
	v_mul_lo_u32 v9, v5, s6
	v_mul_lo_u32 v5, v5, s7
	v_add3_u32 v2, v7, v2, v3
	v_add3_u32 v0, v11, v0, v9
	v_add3_u32 v2, v10, v2, v5
	s_cbranch_scc0 .LBB19_254
	s_branch .LBB19_258
.LBB19_255:
                                        ; implicit-def: $vgpr0
                                        ; implicit-def: $vgpr2
	s_branch .LBB19_262
.LBB19_256:
	v_mov_b32_e32 v0, 0
	v_mov_b32_e32 v2, 0
	s_branch .LBB19_261
.LBB19_257:
	s_mov_b32 s50, 0
	v_mov_b32_e32 v0, 0
	v_mov_b32_e32 v2, 0
	v_mov_b32_e32 v1, v4
.LBB19_258:
	s_and_b32 s4, s56, 3
	s_cmp_eq_u32 s4, 0
	s_cbranch_scc1 .LBB19_261
; %bb.259:
	s_lshl_b32 s0, s50, 3
	s_add_u32 s0, s34, s0
	s_addc_u32 s1, s35, 0
	s_add_u32 s0, s0, 0xc4
	s_addc_u32 s1, s1, 0
	s_mul_i32 s2, s50, 12
	s_add_u32 s2, s34, s2
	s_addc_u32 s3, s35, 0
.LBB19_260:                             ; =>This Inner Loop Header: Depth=1
	s_load_dwordx2 s[6:7], s[2:3], 0x4
	s_load_dword s5, s[2:3], 0xc
	s_load_dwordx2 s[8:9], s[0:1], 0x0
	s_add_u32 s2, s2, 12
	s_addc_u32 s3, s3, 0
	s_waitcnt lgkmcnt(0)
	v_mul_hi_u32 v3, s7, v1
	s_add_u32 s0, s0, 8
	s_addc_u32 s1, s1, 0
	s_add_i32 s4, s4, -1
	v_add_u32_e32 v3, v1, v3
	v_lshrrev_b32_e32 v5, s5, v3
	v_mul_lo_u32 v3, v5, s6
	s_cmp_lg_u32 s4, 0
	v_sub_u32_e32 v3, v1, v3
	v_mad_u64_u32 v[0:1], s[6:7], v3, s8, v[0:1]
	v_mad_u64_u32 v[2:3], s[6:7], v3, s9, v[2:3]
	v_mov_b32_e32 v1, v5
	s_cbranch_scc1 .LBB19_260
.LBB19_261:
	s_cbranch_execnz .LBB19_264
.LBB19_262:
	s_waitcnt lgkmcnt(0)
	v_mul_hi_u32 v0, s25, v4
	s_andn2_b64 vcc, exec, s[42:43]
	v_add_u32_e32 v0, v4, v0
	v_lshrrev_b32_e32 v1, s26, v0
	v_mul_lo_u32 v0, v1, s24
	v_sub_u32_e32 v2, v4, v0
	v_mul_lo_u32 v0, v2, s20
	v_mul_lo_u32 v2, v2, s21
	s_cbranch_vccnz .LBB19_264
; %bb.263:
	v_mul_hi_u32 v3, s40, v1
	v_add_u32_e32 v3, v1, v3
	v_lshrrev_b32_e32 v3, s41, v3
	v_mul_lo_u32 v3, v3, s27
	v_sub_u32_e32 v3, v1, v3
	v_mad_u64_u32 v[0:1], s[0:1], v3, s22, v[0:1]
	v_mad_u64_u32 v[2:3], s[0:1], v3, s23, v[2:3]
.LBB19_264:
	s_waitcnt lgkmcnt(0)
	global_load_dword v1, v2, s[18:19]
	s_mov_b32 s0, 0x40a00000
                                        ; implicit-def: $vgpr2
	s_waitcnt vmcnt(0)
	v_cmp_ge_f32_e32 vcc, s0, v1
	s_and_saveexec_b64 s[0:1], vcc
	s_xor_b64 s[2:3], exec, s[0:1]
	s_cbranch_execz .LBB19_274
; %bb.265:
	v_cmp_neq_f32_e32 vcc, 0, v1
	v_mov_b32_e32 v2, 0xff800000
	s_and_saveexec_b64 s[4:5], vcc
	s_cbranch_execz .LBB19_273
; %bb.266:
	v_cmp_ngt_f32_e32 vcc, 0, v1
	v_mov_b32_e32 v2, 0x7fc00000
	s_and_saveexec_b64 s[6:7], vcc
	s_cbranch_execz .LBB19_272
; %bb.267:
	v_mul_f32_e32 v2, v1, v1
	s_mov_b32 s0, 0x3727c5ac
	v_mul_f32_e32 v4, 0, v2
	v_cmp_ngt_f32_e32 vcc, s0, v1
                                        ; implicit-def: $vgpr3
	s_and_saveexec_b64 s[0:1], vcc
	s_xor_b64 s[0:1], exec, s[0:1]
	s_cbranch_execz .LBB19_269
; %bb.268:
	v_add_f32_e32 v3, 0xcf8ee29d, v4
	v_mov_b32_e32 v5, 0x53e3ba8e
	v_fmac_f32_e32 v5, v2, v3
	v_mov_b32_e32 v3, 0xd762b0a7
	v_fmac_f32_e32 v3, v2, v5
	v_add_f32_e32 v5, 0x43f9c815, v4
	v_mov_b32_e32 v6, 0x4829b65a
	v_fmac_f32_e32 v6, v2, v5
	v_mov_b32_e32 v5, 0x4c38c9a1
	v_fmac_f32_e32 v5, v2, v6
	v_mov_b32_e32 v6, 0x5026ad80
	v_fmac_f32_e32 v6, v2, v5
	v_mov_b32_e32 v5, 0x53f5f59c
	v_fmac_f32_e32 v5, v2, v6
	v_mov_b32_e32 v6, 0x578d3514
	v_fmac_f32_e32 v6, v2, v5
	v_mov_b32_e32 v5, 0x5ae20a0c
	v_fmac_f32_e32 v5, v2, v6
	v_mov_b32_e32 v6, 0x5dbdf1a6
	v_fmac_f32_e32 v6, v2, v5
	v_mov_b32_e32 v5, 0x5a09f7c3
	v_fmac_f32_e32 v5, v2, v3
	v_add_f32_e32 v3, 0xc0b90fdc, v2
	v_add_f32_e32 v7, 0xc1f3c525, v2
	v_mul_f32_e32 v3, v3, v7
	v_mul_f32_e32 v3, v3, v5
	v_div_scale_f32 v5, s[8:9], v6, v6, v3
	v_div_scale_f32 v7, vcc, v3, v6, v3
	v_rcp_f32_e32 v8, v5
	v_fma_f32 v9, -v5, v8, 1.0
	v_fmac_f32_e32 v8, v9, v8
	v_mul_f32_e32 v9, v7, v8
	v_fma_f32 v10, -v5, v9, v7
	v_fmac_f32_e32 v9, v10, v8
	v_fma_f32 v5, -v5, v9, v7
	v_div_fmas_f32 v5, v5, v8, v9
	v_div_fixup_f32 v3, v5, v6, v3
.LBB19_269:
	s_andn2_saveexec_b64 s[0:1], s[0:1]
; %bb.270:
	s_mov_b32 s8, 0xbe800000
	v_fma_f32 v3, v2, s8, 1.0
; %bb.271:
	s_or_b64 exec, exec, s[0:1]
	v_add_f32_e32 v5, 0x4673a1bf, v4
	v_mov_b32_e32 v6, 0xcb5fc0fa
	v_fmac_f32_e32 v6, v2, v5
	v_mov_b32_e32 v5, 0x4fa1fbc8
	v_fmac_f32_e32 v5, v2, v6
	;; [unrolled: 2-line block ×6, first 2 shown]
	v_add_f32_e32 v4, 0x44822913, v4
	v_mov_b32_e32 v6, 0x4918dbb5
	v_fmac_f32_e32 v6, v2, v4
	v_mov_b32_e32 v4, 0x4d803b1b
	v_fmac_f32_e32 v4, v2, v6
	v_mov_b32_e32 v6, 0x51a0eed9
	v_fmac_f32_e32 v6, v2, v4
	v_mov_b32_e32 v4, 0x5593afe6
	v_fmac_f32_e32 v4, v2, v6
	v_mov_b32_e32 v6, 0x59344887
	v_fmac_f32_e32 v6, v2, v4
	v_mov_b32_e32 v4, 0x5c5e92fe
	v_fmac_f32_e32 v4, v2, v6
	v_mov_b32_e32 v6, 0xda836a5b
	v_fmac_f32_e32 v6, v2, v5
	v_div_scale_f32 v2, s[0:1], v4, v4, v6
	v_div_scale_f32 v5, vcc, v6, v4, v6
	s_mov_b32 s0, 0x800000
	v_rcp_f32_e32 v7, v2
	v_fma_f32 v8, -v2, v7, 1.0
	v_fmac_f32_e32 v7, v8, v7
	v_mul_f32_e32 v8, v5, v7
	v_fma_f32 v9, -v2, v8, v5
	v_fmac_f32_e32 v8, v9, v7
	v_fma_f32 v2, -v2, v8, v5
	v_div_fmas_f32 v2, v2, v7, v8
	v_cmp_gt_f32_e32 vcc, s0, v1
	v_cndmask_b32_e64 v5, 0, 32, vcc
	v_ldexp_f32 v1, v1, v5
	v_log_f32_e32 v1, v1
	s_mov_b32 s0, 0x3f317217
	v_mul_f32_e32 v5, 0x3f317217, v1
	v_fma_f32 v5, v1, s0, -v5
	v_fmac_f32_e32 v5, 0x3377d1cf, v1
	s_mov_b32 s0, 0x7f800000
	v_fmac_f32_e32 v5, 0x3f317217, v1
	v_cmp_lt_f32_e64 s[0:1], |v1|, s0
	v_cndmask_b32_e64 v1, v1, v5, s[0:1]
	v_div_fixup_f32 v2, v2, v4, v6
	v_mov_b32_e32 v4, 0x41b17218
	v_cndmask_b32_e32 v4, 0, v4, vcc
	v_sub_f32_e32 v1, v1, v4
	v_mul_f32_e32 v1, 0x3f22f983, v1
	v_fmac_f32_e32 v2, v1, v3
.LBB19_272:
	s_or_b64 exec, exec, s[6:7]
.LBB19_273:
	s_or_b64 exec, exec, s[4:5]
                                        ; implicit-def: $vgpr1
.LBB19_274:
	s_andn2_saveexec_b64 s[6:7], s[2:3]
	s_cbranch_execz .LBB19_284
; %bb.275:
	v_add_f32_e32 v2, 0xbf490fdb, v1
	s_brev_b32 s0, 18
	v_and_b32_e32 v3, 0x7fffffff, v2
	v_cmp_nlt_f32_e64 s[8:9], |v2|, s0
                                        ; implicit-def: $vgpr4
                                        ; implicit-def: $vgpr5
	s_and_saveexec_b64 s[0:1], s[8:9]
	s_xor_b64 s[10:11], exec, s[0:1]
	s_cbranch_execz .LBB19_277
; %bb.276:
	v_and_b32_e32 v4, 0x7fffff, v3
	v_or_b32_e32 v13, 0x800000, v4
	s_mov_b32 s0, 0xfe5163ab
	v_mad_u64_u32 v[4:5], s[0:1], v13, s0, 0
	v_mov_b32_e32 v6, 0
	s_mov_b32 s0, 0x3c439041
	v_mad_u64_u32 v[7:8], s[0:1], v13, s0, v[5:6]
	s_mov_b32 s0, 0xdb629599
	v_not_b32_e32 v12, 63
	v_mov_b32_e32 v5, v8
	v_mad_u64_u32 v[8:9], s[0:1], v13, s0, v[5:6]
	s_mov_b32 s0, 0xf534ddc0
	v_not_b32_e32 v15, 31
	v_mov_b32_e32 v5, v9
	v_mad_u64_u32 v[9:10], s[0:1], v13, s0, v[5:6]
	v_lshrrev_b32_e32 v5, 23, v3
	v_add_u32_e32 v14, 0xffffff88, v5
	v_mov_b32_e32 v5, v10
	s_mov_b32 s0, 0xfc2757d1
	v_mad_u64_u32 v[10:11], s[0:1], v13, s0, v[5:6]
	v_cmp_lt_u32_e32 vcc, 63, v14
	v_cndmask_b32_e32 v5, 0, v12, vcc
	v_add_u32_e32 v14, v5, v14
	v_mov_b32_e32 v5, v11
	s_mov_b32 s0, 0x4e441529
	v_mad_u64_u32 v[11:12], s[0:1], v13, s0, v[5:6]
	v_cmp_lt_u32_e64 s[0:1], 31, v14
	v_cndmask_b32_e64 v5, 0, v15, s[0:1]
	v_add_u32_e32 v14, v5, v14
	v_mov_b32_e32 v5, v12
	s_mov_b32 s2, 0xa2f9836e
	v_mad_u64_u32 v[5:6], s[2:3], v13, s2, v[5:6]
	v_cmp_lt_u32_e64 s[2:3], 31, v14
	v_cndmask_b32_e64 v12, 0, v15, s[2:3]
	v_cndmask_b32_e32 v13, v11, v9, vcc
	v_cndmask_b32_e32 v5, v5, v10, vcc
	;; [unrolled: 1-line block ×3, first 2 shown]
	v_add_u32_e32 v12, v12, v14
	v_cndmask_b32_e64 v14, v5, v13, s[0:1]
	v_cndmask_b32_e64 v5, v6, v5, s[0:1]
	v_cndmask_b32_e32 v6, v10, v8, vcc
	v_cndmask_b32_e64 v10, v13, v6, s[0:1]
	v_cndmask_b32_e64 v5, v5, v14, s[2:3]
	;; [unrolled: 1-line block ×3, first 2 shown]
	v_sub_u32_e32 v13, 32, v12
	v_alignbit_b32 v14, v5, v11, v13
	v_cmp_eq_u32_e64 s[4:5], 0, v12
	v_cndmask_b32_e64 v12, v14, v5, s[4:5]
	v_cndmask_b32_e32 v5, v9, v7, vcc
	v_cndmask_b32_e64 v6, v6, v5, s[0:1]
	v_cndmask_b32_e64 v7, v10, v6, s[2:3]
	v_alignbit_b32 v9, v11, v7, v13
	v_cndmask_b32_e32 v4, v8, v4, vcc
	v_cndmask_b32_e64 v9, v9, v11, s[4:5]
	v_bfe_u32 v14, v12, 29, 1
	v_cndmask_b32_e64 v4, v5, v4, s[0:1]
	v_alignbit_b32 v10, v12, v9, 30
	v_sub_u32_e32 v15, 0, v14
	v_cndmask_b32_e64 v4, v6, v4, s[2:3]
	v_xor_b32_e32 v10, v10, v15
	v_alignbit_b32 v5, v7, v4, v13
	v_cndmask_b32_e64 v5, v5, v7, s[4:5]
	v_ffbh_u32_e32 v7, v10
	v_alignbit_b32 v6, v9, v5, 30
	v_min_u32_e32 v7, 32, v7
	v_alignbit_b32 v4, v5, v4, 30
	v_xor_b32_e32 v6, v6, v15
	v_sub_u32_e32 v8, 31, v7
	v_xor_b32_e32 v4, v4, v15
	v_alignbit_b32 v9, v10, v6, v8
	v_alignbit_b32 v4, v6, v4, v8
	;; [unrolled: 1-line block ×3, first 2 shown]
	v_ffbh_u32_e32 v6, v5
	v_min_u32_e32 v6, 32, v6
	v_lshrrev_b32_e32 v11, 29, v12
	v_not_b32_e32 v8, v6
	v_alignbit_b32 v4, v5, v4, v8
	v_lshlrev_b32_e32 v5, 31, v11
	v_or_b32_e32 v8, 0x33000000, v5
	v_add_lshl_u32 v6, v6, v7, 23
	v_lshrrev_b32_e32 v4, 9, v4
	v_sub_u32_e32 v6, v8, v6
	v_or_b32_e32 v5, 0.5, v5
	v_lshlrev_b32_e32 v7, 23, v7
	v_or_b32_e32 v4, v6, v4
	v_lshrrev_b32_e32 v6, 9, v9
	v_sub_u32_e32 v5, v5, v7
	v_or_b32_e32 v5, v6, v5
	s_mov_b32 s0, 0x3fc90fda
	v_mul_f32_e32 v6, 0x3fc90fda, v5
	v_fma_f32 v7, v5, s0, -v6
	v_fmac_f32_e32 v7, 0x33a22168, v5
	v_fmac_f32_e32 v7, 0x3fc90fda, v4
	v_lshrrev_b32_e32 v4, 30, v12
	v_add_f32_e32 v5, v6, v7
	v_add_u32_e32 v4, v14, v4
	s_andn2_saveexec_b64 s[0:1], s[10:11]
	s_cbranch_execz .LBB19_279
	s_branch .LBB19_278
.LBB19_277:
	s_andn2_saveexec_b64 s[0:1], s[10:11]
	s_cbranch_execz .LBB19_279
.LBB19_278:
	s_mov_b32 s2, 0x3f22f983
	v_mul_f32_e64 v4, |v2|, s2
	v_rndne_f32_e32 v6, v4
	s_mov_b32 s2, 0xbfc90fda
	v_cvt_i32_f32_e32 v4, v6
	v_fma_f32 v5, v6, s2, |v2|
	v_fmac_f32_e32 v5, 0xb3a22168, v6
	v_fmac_f32_e32 v5, 0xa7c234c4, v6
.LBB19_279:
	s_or_b64 exec, exec, s[0:1]
                                        ; implicit-def: $vgpr6
                                        ; implicit-def: $vgpr7
	s_and_saveexec_b64 s[0:1], s[8:9]
	s_xor_b64 s[8:9], exec, s[0:1]
	s_cbranch_execz .LBB19_281
; %bb.280:
	v_and_b32_e32 v6, 0x7fffff, v3
	v_or_b32_e32 v15, 0x800000, v6
	s_mov_b32 s0, 0xfe5163ab
	v_mad_u64_u32 v[6:7], s[0:1], v15, s0, 0
	v_mov_b32_e32 v8, 0
	s_mov_b32 s0, 0x3c439041
	v_mad_u64_u32 v[9:10], s[0:1], v15, s0, v[7:8]
	s_mov_b32 s0, 0xdb629599
	v_not_b32_e32 v14, 63
	v_mov_b32_e32 v7, v10
	v_mad_u64_u32 v[10:11], s[0:1], v15, s0, v[7:8]
	s_mov_b32 s0, 0xf534ddc0
	v_not_b32_e32 v17, 31
	v_mov_b32_e32 v7, v11
	v_mad_u64_u32 v[11:12], s[0:1], v15, s0, v[7:8]
	v_lshrrev_b32_e32 v7, 23, v3
	v_add_u32_e32 v16, 0xffffff88, v7
	v_mov_b32_e32 v7, v12
	s_mov_b32 s0, 0xfc2757d1
	v_mad_u64_u32 v[12:13], s[0:1], v15, s0, v[7:8]
	v_cmp_lt_u32_e32 vcc, 63, v16
	v_cndmask_b32_e32 v7, 0, v14, vcc
	v_add_u32_e32 v16, v7, v16
	v_mov_b32_e32 v7, v13
	s_mov_b32 s0, 0x4e441529
	v_mad_u64_u32 v[13:14], s[0:1], v15, s0, v[7:8]
	v_cmp_lt_u32_e64 s[0:1], 31, v16
	v_cndmask_b32_e64 v7, 0, v17, s[0:1]
	v_add_u32_e32 v16, v7, v16
	v_mov_b32_e32 v7, v14
	s_mov_b32 s2, 0xa2f9836e
	v_mad_u64_u32 v[7:8], s[2:3], v15, s2, v[7:8]
	v_cmp_lt_u32_e64 s[2:3], 31, v16
	v_cndmask_b32_e64 v14, 0, v17, s[2:3]
	v_cndmask_b32_e32 v15, v13, v11, vcc
	v_cndmask_b32_e32 v7, v7, v12, vcc
	;; [unrolled: 1-line block ×3, first 2 shown]
	v_add_u32_e32 v14, v14, v16
	v_cndmask_b32_e64 v16, v7, v15, s[0:1]
	v_cndmask_b32_e64 v7, v8, v7, s[0:1]
	v_cndmask_b32_e32 v8, v12, v10, vcc
	v_cndmask_b32_e64 v12, v15, v8, s[0:1]
	v_cndmask_b32_e64 v7, v7, v16, s[2:3]
	v_cndmask_b32_e64 v13, v16, v12, s[2:3]
	v_sub_u32_e32 v15, 32, v14
	v_alignbit_b32 v16, v7, v13, v15
	v_cmp_eq_u32_e64 s[4:5], 0, v14
	v_cndmask_b32_e64 v14, v16, v7, s[4:5]
	v_cndmask_b32_e32 v7, v11, v9, vcc
	v_cndmask_b32_e64 v8, v8, v7, s[0:1]
	v_cndmask_b32_e64 v9, v12, v8, s[2:3]
	v_alignbit_b32 v11, v13, v9, v15
	v_cndmask_b32_e32 v6, v10, v6, vcc
	v_cndmask_b32_e64 v11, v11, v13, s[4:5]
	v_bfe_u32 v16, v14, 29, 1
	v_cndmask_b32_e64 v6, v7, v6, s[0:1]
	v_alignbit_b32 v12, v14, v11, 30
	v_sub_u32_e32 v17, 0, v16
	v_cndmask_b32_e64 v6, v8, v6, s[2:3]
	v_xor_b32_e32 v12, v12, v17
	v_alignbit_b32 v7, v9, v6, v15
	v_cndmask_b32_e64 v7, v7, v9, s[4:5]
	v_ffbh_u32_e32 v9, v12
	v_alignbit_b32 v8, v11, v7, 30
	v_min_u32_e32 v9, 32, v9
	v_alignbit_b32 v6, v7, v6, 30
	v_xor_b32_e32 v8, v8, v17
	v_sub_u32_e32 v10, 31, v9
	v_xor_b32_e32 v6, v6, v17
	v_alignbit_b32 v11, v12, v8, v10
	v_alignbit_b32 v6, v8, v6, v10
	;; [unrolled: 1-line block ×3, first 2 shown]
	v_ffbh_u32_e32 v8, v7
	v_min_u32_e32 v8, 32, v8
	v_lshrrev_b32_e32 v13, 29, v14
	v_not_b32_e32 v10, v8
	v_alignbit_b32 v6, v7, v6, v10
	v_lshlrev_b32_e32 v7, 31, v13
	v_or_b32_e32 v10, 0x33000000, v7
	v_add_lshl_u32 v8, v8, v9, 23
	v_lshrrev_b32_e32 v6, 9, v6
	v_sub_u32_e32 v8, v10, v8
	v_or_b32_e32 v7, 0.5, v7
	v_lshlrev_b32_e32 v9, 23, v9
	v_or_b32_e32 v6, v8, v6
	v_lshrrev_b32_e32 v8, 9, v11
	v_sub_u32_e32 v7, v7, v9
	v_or_b32_e32 v7, v8, v7
	s_mov_b32 s0, 0x3fc90fda
	v_mul_f32_e32 v8, 0x3fc90fda, v7
	v_fma_f32 v9, v7, s0, -v8
	v_fmac_f32_e32 v9, 0x33a22168, v7
	v_fmac_f32_e32 v9, 0x3fc90fda, v6
	v_lshrrev_b32_e32 v6, 30, v14
	v_add_f32_e32 v7, v8, v9
	v_add_u32_e32 v6, v16, v6
	s_andn2_saveexec_b64 s[0:1], s[8:9]
	s_cbranch_execnz .LBB19_282
	s_branch .LBB19_283
.LBB19_281:
	s_andn2_saveexec_b64 s[0:1], s[8:9]
	s_cbranch_execz .LBB19_283
.LBB19_282:
	s_mov_b32 s2, 0x3f22f983
	v_mul_f32_e64 v6, |v2|, s2
	v_rndne_f32_e32 v8, v6
	s_mov_b32 s2, 0xbfc90fda
	v_cvt_i32_f32_e32 v6, v8
	v_fma_f32 v7, v8, s2, |v2|
	v_fmac_f32_e32 v7, 0xb3a22168, v8
	v_fmac_f32_e32 v7, 0xa7c234c4, v8
.LBB19_283:
	s_or_b64 exec, exec, s[0:1]
	v_mul_f32_e32 v8, v1, v1
	s_mov_b32 s2, 0x41c80000
	v_div_scale_f32 v9, s[0:1], v8, v8, s2
	v_div_scale_f32 v10, vcc, s2, v8, s2
	v_mov_b32_e32 v11, 0x3a50e985
	v_mov_b32_e32 v13, 0x3da9a586
	;; [unrolled: 1-line block ×12, first 2 shown]
	v_rcp_f32_e32 v12, v9
	v_mov_b32_e32 v26, 0xc331ae61
	v_mov_b32_e32 v27, 0xc31313d7
	;; [unrolled: 1-line block ×3, first 2 shown]
	v_fma_f32 v16, -v9, v12, 1.0
	v_fmac_f32_e32 v12, v16, v12
	v_mul_f32_e32 v16, v10, v12
	v_fma_f32 v17, -v9, v16, v10
	v_fmac_f32_e32 v16, v17, v12
	v_fma_f32 v9, -v9, v16, v10
	v_div_fmas_f32 v9, v9, v12, v16
	v_mov_b32_e32 v16, 0x3a725406
	v_mov_b32_e32 v17, 0x3daf5e2d
	;; [unrolled: 1-line block ×6, first 2 shown]
	v_xor_b32_e32 v3, v3, v2
	v_mov_b32_e32 v29, 0x3c0881c4
	v_div_fixup_f32 v9, v9, v8, s2
	v_fmac_f32_e32 v11, 0, v9
	v_fmac_f32_e32 v16, 0, v9
	;; [unrolled: 1-line block ×12, first 2 shown]
	v_fma_f32 v10, v9, v21, 1.0
	v_fma_f32 v11, v9, v12, 1.0
	v_div_scale_f32 v12, s[0:1], v10, v10, v11
	v_div_scale_f32 v16, vcc, v11, v10, v11
	v_mov_b32_e32 v13, 0x4280a2ba
	s_mov_b32 s2, 0x40a00000
	v_fmac_f32_e32 v22, 0, v9
	v_mov_b32_e32 v14, 0x44561b86
	v_div_scale_f32 v33, s[0:1], v1, v1, s2
	v_fmac_f32_e32 v13, 0, v9
	v_fmac_f32_e32 v23, v9, v22
	v_mov_b32_e32 v15, 0x4572a66e
	v_fmac_f32_e32 v14, v9, v13
	v_fmac_f32_e32 v24, v9, v23
	v_mov_b32_e32 v17, 0x45e243be
	v_rcp_f32_e32 v32, v12
	v_fmac_f32_e32 v15, v9, v14
	v_fmac_f32_e32 v25, v9, v24
	v_mov_b32_e32 v18, 0x45b955d1
	v_fma_f32 v34, -v12, v32, 1.0
	v_fmac_f32_e32 v32, v34, v32
	v_mul_f32_e32 v34, v16, v32
	v_fma_f32 v35, -v12, v34, v16
	v_fmac_f32_e32 v34, v35, v32
	v_fma_f32 v12, -v12, v34, v16
	v_div_fmas_f32 v12, v12, v32, v34
	v_fmac_f32_e32 v17, v9, v15
	v_fmac_f32_e32 v26, v9, v25
	v_mov_b32_e32 v19, 0x4500e17e
	v_fmac_f32_e32 v18, v9, v17
	v_fmac_f32_e32 v27, v9, v26
	v_mov_b32_e32 v8, 0xc0c19ac7
	v_mov_b32_e32 v20, 0x43720178
	v_fmac_f32_e32 v19, v9, v18
	v_fmac_f32_e32 v28, v9, v27
	v_fmac_f32_e32 v20, v9, v19
	v_fmac_f32_e32 v8, v9, v28
	v_rcp_f32_e32 v15, v33
	v_mul_f32_e32 v21, v5, v5
	v_mov_b32_e32 v13, 0xbab64f3b
	v_fmac_f32_e32 v30, 0xb94c1982, v21
	v_div_fixup_f32 v9, v12, v10, v11
	v_div_scale_f32 v11, vcc, s2, v1, s2
	v_div_scale_f32 v12, s[0:1], v20, v20, v8
	v_div_scale_f32 v14, s[0:1], v8, v20, v8
	v_fma_f32 v18, -v33, v15, 1.0
	v_fmac_f32_e32 v15, v18, v15
	v_fmac_f32_e32 v13, 0x37d75334, v21
	v_mov_b32_e32 v16, 0x3d2aabf7
	v_fma_f32 v10, v21, v30, v31
	v_fma_f32 v13, v21, v13, v16
	v_mov_b32_e32 v17, 0xbf000004
	v_mul_f32_e32 v10, v21, v10
	v_fma_f32 v13, v21, v13, v17
	v_fmac_f32_e32 v5, v5, v10
	v_mul_f32_e32 v18, v11, v15
	v_fma_f32 v19, -v33, v18, v11
	v_fmac_f32_e32 v18, v19, v15
	v_rcp_f32_e32 v19, v12
	v_fma_f32 v11, -v33, v18, v11
	v_div_fmas_f32 v11, v11, v15, v18
	s_mov_b64 vcc, s[0:1]
	v_fma_f32 v15, -v12, v19, 1.0
	v_fmac_f32_e32 v19, v15, v19
	v_mul_f32_e32 v15, v14, v19
	v_fma_f32 v18, -v12, v15, v14
	v_fmac_f32_e32 v15, v18, v19
	v_fma_f32 v12, -v12, v15, v14
	v_div_fmas_f32 v12, v12, v19, v15
	v_and_b32_e32 v14, 1, v4
	v_lshlrev_b32_e32 v4, 30, v4
	v_fma_f32 v13, v21, v13, 1.0
	v_cmp_eq_u32_e32 vcc, 0, v14
	v_and_b32_e32 v4, 0x80000000, v4
	v_cndmask_b32_e32 v5, v13, v5, vcc
	v_xor_b32_e32 v3, v3, v4
	s_movk_i32 s0, 0x1f8
	v_xor_b32_e32 v3, v3, v5
	v_mov_b32_e32 v4, 0x7fc00000
	v_cmp_class_f32_e64 vcc, v2, s0
	v_cndmask_b32_e32 v2, v4, v3, vcc
	v_div_fixup_f32 v3, v11, v1, s2
	v_mov_b32_e32 v10, 0xbab64f3b
	v_div_fixup_f32 v5, v12, v20, v8
	v_mul_f32_e32 v3, v3, v5
	v_mul_f32_e32 v5, v7, v7
	v_fmac_f32_e32 v29, 0xb94c1982, v5
	v_fmac_f32_e32 v31, v5, v29
	;; [unrolled: 1-line block ×3, first 2 shown]
	v_mul_f32_e32 v8, v5, v31
	v_fmac_f32_e32 v16, v5, v10
	v_fmac_f32_e32 v7, v7, v8
	;; [unrolled: 1-line block ×3, first 2 shown]
	v_and_b32_e32 v8, 1, v6
	v_fma_f32 v5, v5, v17, 1.0
	v_cmp_eq_u32_e64 s[0:1], 0, v8
	v_lshlrev_b32_e32 v6, 30, v6
	v_cndmask_b32_e64 v5, -v7, v5, s[0:1]
	v_and_b32_e32 v6, 0x80000000, v6
	v_xor_b32_e32 v5, v6, v5
	s_mov_b32 s0, 0xf800000
	v_cndmask_b32_e32 v4, v4, v5, vcc
	v_mul_f32_e32 v5, 0x4f800000, v1
	v_cmp_gt_f32_e32 vcc, s0, v1
	v_cndmask_b32_e32 v1, v1, v5, vcc
	v_sqrt_f32_e32 v5, v1
	v_mul_f32_e32 v3, v3, v4
	v_fmac_f32_e32 v3, v9, v2
	v_mul_f32_e32 v2, 0x3f4c422a, v3
	v_add_u32_e32 v3, -1, v5
	v_fma_f32 v4, -v3, v5, v1
	v_cmp_ge_f32_e64 s[0:1], 0, v4
	v_add_u32_e32 v4, 1, v5
	v_cndmask_b32_e64 v3, v5, v3, s[0:1]
	v_fma_f32 v5, -v4, v5, v1
	v_cmp_lt_f32_e64 s[0:1], 0, v5
	v_cndmask_b32_e64 v3, v3, v4, s[0:1]
	v_mul_f32_e32 v4, 0x37800000, v3
	v_cndmask_b32_e32 v3, v3, v4, vcc
	v_mov_b32_e32 v4, 0x260
	v_cmp_class_f32_e32 vcc, v1, v4
	v_cndmask_b32_e32 v1, v3, v1, vcc
	v_div_scale_f32 v3, s[0:1], v1, v1, v2
	v_div_scale_f32 v4, vcc, v2, v1, v2
	v_rcp_f32_e32 v5, v3
	v_fma_f32 v6, -v3, v5, 1.0
	v_fmac_f32_e32 v5, v6, v5
	v_mul_f32_e32 v6, v4, v5
	v_fma_f32 v7, -v3, v6, v4
	v_fmac_f32_e32 v6, v7, v5
	v_fma_f32 v3, -v3, v6, v4
	v_div_fmas_f32 v3, v3, v5, v6
	v_div_fixup_f32 v2, v3, v1, v2
.LBB19_284:
	s_or_b64 exec, exec, s[6:7]
	global_store_dword v0, v2, s[16:17]
	s_or_b64 exec, exec, s[48:49]
                                        ; implicit-def: $vgpr13
                                        ; implicit-def: $vgpr4
	s_andn2_saveexec_b64 s[0:1], s[38:39]
	s_cbranch_execz .LBB19_221
	s_branch .LBB19_8
	.section	.rodata,"a",@progbits
	.p2align	6, 0x0
	.amdhsa_kernel _ZN2at6native32elementwise_kernel_manual_unrollILi128ELi4EZNS0_22gpu_kernel_impl_nocastIZZZNS0_12_GLOBAL__N_121bessel_y0_kernel_cudaERNS_18TensorIteratorBaseEENKUlvE_clEvENKUlvE0_clEvEUlfE_EEvS5_RKT_EUlibE_EEviT1_
		.amdhsa_group_segment_fixed_size 0
		.amdhsa_private_segment_fixed_size 0
		.amdhsa_kernarg_size 360
		.amdhsa_user_sgpr_count 6
		.amdhsa_user_sgpr_private_segment_buffer 1
		.amdhsa_user_sgpr_dispatch_ptr 0
		.amdhsa_user_sgpr_queue_ptr 0
		.amdhsa_user_sgpr_kernarg_segment_ptr 1
		.amdhsa_user_sgpr_dispatch_id 0
		.amdhsa_user_sgpr_flat_scratch_init 0
		.amdhsa_user_sgpr_private_segment_size 0
		.amdhsa_uses_dynamic_stack 0
		.amdhsa_system_sgpr_private_segment_wavefront_offset 0
		.amdhsa_system_sgpr_workgroup_id_x 1
		.amdhsa_system_sgpr_workgroup_id_y 0
		.amdhsa_system_sgpr_workgroup_id_z 0
		.amdhsa_system_sgpr_workgroup_info 0
		.amdhsa_system_vgpr_workitem_id 0
		.amdhsa_next_free_vgpr 42
		.amdhsa_next_free_sgpr 60
		.amdhsa_reserve_vcc 1
		.amdhsa_reserve_flat_scratch 0
		.amdhsa_float_round_mode_32 0
		.amdhsa_float_round_mode_16_64 0
		.amdhsa_float_denorm_mode_32 3
		.amdhsa_float_denorm_mode_16_64 3
		.amdhsa_dx10_clamp 1
		.amdhsa_ieee_mode 1
		.amdhsa_fp16_overflow 0
		.amdhsa_exception_fp_ieee_invalid_op 0
		.amdhsa_exception_fp_denorm_src 0
		.amdhsa_exception_fp_ieee_div_zero 0
		.amdhsa_exception_fp_ieee_overflow 0
		.amdhsa_exception_fp_ieee_underflow 0
		.amdhsa_exception_fp_ieee_inexact 0
		.amdhsa_exception_int_div_zero 0
	.end_amdhsa_kernel
	.section	.text._ZN2at6native32elementwise_kernel_manual_unrollILi128ELi4EZNS0_22gpu_kernel_impl_nocastIZZZNS0_12_GLOBAL__N_121bessel_y0_kernel_cudaERNS_18TensorIteratorBaseEENKUlvE_clEvENKUlvE0_clEvEUlfE_EEvS5_RKT_EUlibE_EEviT1_,"axG",@progbits,_ZN2at6native32elementwise_kernel_manual_unrollILi128ELi4EZNS0_22gpu_kernel_impl_nocastIZZZNS0_12_GLOBAL__N_121bessel_y0_kernel_cudaERNS_18TensorIteratorBaseEENKUlvE_clEvENKUlvE0_clEvEUlfE_EEvS5_RKT_EUlibE_EEviT1_,comdat
.Lfunc_end19:
	.size	_ZN2at6native32elementwise_kernel_manual_unrollILi128ELi4EZNS0_22gpu_kernel_impl_nocastIZZZNS0_12_GLOBAL__N_121bessel_y0_kernel_cudaERNS_18TensorIteratorBaseEENKUlvE_clEvENKUlvE0_clEvEUlfE_EEvS5_RKT_EUlibE_EEviT1_, .Lfunc_end19-_ZN2at6native32elementwise_kernel_manual_unrollILi128ELi4EZNS0_22gpu_kernel_impl_nocastIZZZNS0_12_GLOBAL__N_121bessel_y0_kernel_cudaERNS_18TensorIteratorBaseEENKUlvE_clEvENKUlvE0_clEvEUlfE_EEvS5_RKT_EUlibE_EEviT1_
                                        ; -- End function
	.set _ZN2at6native32elementwise_kernel_manual_unrollILi128ELi4EZNS0_22gpu_kernel_impl_nocastIZZZNS0_12_GLOBAL__N_121bessel_y0_kernel_cudaERNS_18TensorIteratorBaseEENKUlvE_clEvENKUlvE0_clEvEUlfE_EEvS5_RKT_EUlibE_EEviT1_.num_vgpr, 42
	.set _ZN2at6native32elementwise_kernel_manual_unrollILi128ELi4EZNS0_22gpu_kernel_impl_nocastIZZZNS0_12_GLOBAL__N_121bessel_y0_kernel_cudaERNS_18TensorIteratorBaseEENKUlvE_clEvENKUlvE0_clEvEUlfE_EEvS5_RKT_EUlibE_EEviT1_.num_agpr, 0
	.set _ZN2at6native32elementwise_kernel_manual_unrollILi128ELi4EZNS0_22gpu_kernel_impl_nocastIZZZNS0_12_GLOBAL__N_121bessel_y0_kernel_cudaERNS_18TensorIteratorBaseEENKUlvE_clEvENKUlvE0_clEvEUlfE_EEvS5_RKT_EUlibE_EEviT1_.numbered_sgpr, 60
	.set _ZN2at6native32elementwise_kernel_manual_unrollILi128ELi4EZNS0_22gpu_kernel_impl_nocastIZZZNS0_12_GLOBAL__N_121bessel_y0_kernel_cudaERNS_18TensorIteratorBaseEENKUlvE_clEvENKUlvE0_clEvEUlfE_EEvS5_RKT_EUlibE_EEviT1_.num_named_barrier, 0
	.set _ZN2at6native32elementwise_kernel_manual_unrollILi128ELi4EZNS0_22gpu_kernel_impl_nocastIZZZNS0_12_GLOBAL__N_121bessel_y0_kernel_cudaERNS_18TensorIteratorBaseEENKUlvE_clEvENKUlvE0_clEvEUlfE_EEvS5_RKT_EUlibE_EEviT1_.private_seg_size, 0
	.set _ZN2at6native32elementwise_kernel_manual_unrollILi128ELi4EZNS0_22gpu_kernel_impl_nocastIZZZNS0_12_GLOBAL__N_121bessel_y0_kernel_cudaERNS_18TensorIteratorBaseEENKUlvE_clEvENKUlvE0_clEvEUlfE_EEvS5_RKT_EUlibE_EEviT1_.uses_vcc, 1
	.set _ZN2at6native32elementwise_kernel_manual_unrollILi128ELi4EZNS0_22gpu_kernel_impl_nocastIZZZNS0_12_GLOBAL__N_121bessel_y0_kernel_cudaERNS_18TensorIteratorBaseEENKUlvE_clEvENKUlvE0_clEvEUlfE_EEvS5_RKT_EUlibE_EEviT1_.uses_flat_scratch, 0
	.set _ZN2at6native32elementwise_kernel_manual_unrollILi128ELi4EZNS0_22gpu_kernel_impl_nocastIZZZNS0_12_GLOBAL__N_121bessel_y0_kernel_cudaERNS_18TensorIteratorBaseEENKUlvE_clEvENKUlvE0_clEvEUlfE_EEvS5_RKT_EUlibE_EEviT1_.has_dyn_sized_stack, 0
	.set _ZN2at6native32elementwise_kernel_manual_unrollILi128ELi4EZNS0_22gpu_kernel_impl_nocastIZZZNS0_12_GLOBAL__N_121bessel_y0_kernel_cudaERNS_18TensorIteratorBaseEENKUlvE_clEvENKUlvE0_clEvEUlfE_EEvS5_RKT_EUlibE_EEviT1_.has_recursion, 0
	.set _ZN2at6native32elementwise_kernel_manual_unrollILi128ELi4EZNS0_22gpu_kernel_impl_nocastIZZZNS0_12_GLOBAL__N_121bessel_y0_kernel_cudaERNS_18TensorIteratorBaseEENKUlvE_clEvENKUlvE0_clEvEUlfE_EEvS5_RKT_EUlibE_EEviT1_.has_indirect_call, 0
	.section	.AMDGPU.csdata,"",@progbits
; Kernel info:
; codeLenInByte = 31712
; TotalNumSgprs: 64
; NumVgprs: 42
; ScratchSize: 0
; MemoryBound: 0
; FloatMode: 240
; IeeeMode: 1
; LDSByteSize: 0 bytes/workgroup (compile time only)
; SGPRBlocks: 7
; VGPRBlocks: 10
; NumSGPRsForWavesPerEU: 64
; NumVGPRsForWavesPerEU: 42
; Occupancy: 5
; WaveLimiterHint : 1
; COMPUTE_PGM_RSRC2:SCRATCH_EN: 0
; COMPUTE_PGM_RSRC2:USER_SGPR: 6
; COMPUTE_PGM_RSRC2:TRAP_HANDLER: 0
; COMPUTE_PGM_RSRC2:TGID_X_EN: 1
; COMPUTE_PGM_RSRC2:TGID_Y_EN: 0
; COMPUTE_PGM_RSRC2:TGID_Z_EN: 0
; COMPUTE_PGM_RSRC2:TIDIG_COMP_CNT: 0
	.text
	.p2align	2                               ; -- Begin function _ZN2at6native6invokeIZZZNS0_12_GLOBAL__N_121bessel_y0_kernel_cudaERNS_18TensorIteratorBaseEENKUlvE_clEvENKUlvE0_clEvEUlfE_i15function_traitsIS7_EEENT1_11result_typeERKT_PrKPcPKT0_PKN3c1010ScalarTypeEi
	.type	_ZN2at6native6invokeIZZZNS0_12_GLOBAL__N_121bessel_y0_kernel_cudaERNS_18TensorIteratorBaseEENKUlvE_clEvENKUlvE0_clEvEUlfE_i15function_traitsIS7_EEENT1_11result_typeERKT_PrKPcPKT0_PKN3c1010ScalarTypeEi,@function
_ZN2at6native6invokeIZZZNS0_12_GLOBAL__N_121bessel_y0_kernel_cudaERNS_18TensorIteratorBaseEENKUlvE_clEvENKUlvE0_clEvEUlfE_i15function_traitsIS7_EEENT1_11result_typeERKT_PrKPcPKT0_PKN3c1010ScalarTypeEi: ; @_ZN2at6native6invokeIZZZNS0_12_GLOBAL__N_121bessel_y0_kernel_cudaERNS_18TensorIteratorBaseEENKUlvE_clEvENKUlvE0_clEvEUlfE_i15function_traitsIS7_EEENT1_11result_typeERKT_PrKPcPKT0_PKN3c1010ScalarTypeEi
; %bb.0:
	s_waitcnt vmcnt(0) expcnt(0) lgkmcnt(0)
	v_mul_lo_u32 v2, v4, v2
	s_mov_b64 s[6:7], 0
	v_ashrrev_i32_e32 v4, 31, v2
	v_add_co_u32_e32 v0, vcc, v0, v2
	v_mov_b32_e32 v2, 10
	v_addc_co_u32_e32 v1, vcc, v1, v4, vcc
	v_cmp_gt_i16_sdwa s[4:5], v3, v2 src0_sel:BYTE_0 src1_sel:DWORD
                                        ; implicit-def: $vgpr2
	s_and_saveexec_b64 s[8:9], s[4:5]
	s_xor_b64 s[4:5], exec, s[8:9]
	s_cbranch_execz .LBB20_53
; %bb.1:
	v_mov_b32_e32 v2, 25
	v_cmp_gt_i16_sdwa s[10:11], v3, v2 src0_sel:BYTE_0 src1_sel:DWORD
	s_mov_b64 s[12:13], 0
	s_mov_b64 s[8:9], 0
                                        ; implicit-def: $vgpr2
	s_and_saveexec_b64 s[14:15], s[10:11]
	s_xor_b64 s[10:11], exec, s[14:15]
	s_cbranch_execz .LBB20_96
; %bb.2:
	v_mov_b32_e32 v2, 28
	v_cmp_gt_i16_sdwa s[8:9], v3, v2 src0_sel:BYTE_0 src1_sel:DWORD
	s_mov_b64 s[14:15], 0
                                        ; implicit-def: $vgpr2
	s_and_saveexec_b64 s[16:17], s[8:9]
	s_xor_b64 s[8:9], exec, s[16:17]
	s_cbranch_execz .LBB20_18
; %bb.3:
	v_mov_b32_e32 v2, 43
	v_cmp_gt_i16_sdwa s[12:13], v3, v2 src0_sel:BYTE_0 src1_sel:DWORD
	s_mov_b64 s[16:17], 0
	s_mov_b64 s[18:19], 0
                                        ; implicit-def: $vgpr2
	s_and_saveexec_b64 s[14:15], s[12:13]
	s_xor_b64 s[12:13], exec, s[14:15]
	s_cbranch_execz .LBB20_13
; %bb.4:
	v_mov_b32_e32 v2, 45
	v_cmp_gt_i16_sdwa s[18:19], v3, v2 src0_sel:BYTE_0 src1_sel:DWORD
	s_mov_b64 s[14:15], 0
                                        ; implicit-def: $vgpr2
	s_and_saveexec_b64 s[20:21], s[18:19]
	s_xor_b64 s[18:19], exec, s[20:21]
	s_cbranch_execz .LBB20_8
; %bb.5:
	v_mov_b32_e32 v2, 46
	v_cmp_eq_u16_sdwa s[22:23], v3, v2 src0_sel:BYTE_0 src1_sel:DWORD
	s_mov_b64 s[20:21], -1
                                        ; implicit-def: $vgpr2
	s_and_saveexec_b64 s[16:17], s[22:23]
	s_cbranch_execz .LBB20_7
; %bb.6:
	flat_load_dword v2, v[0:1]
	s_mov_b64 s[14:15], exec
	s_xor_b64 s[20:21], exec, -1
	s_waitcnt vmcnt(0) lgkmcnt(0)
	v_lshlrev_b32_e32 v2, 16, v2
.LBB20_7:
	s_or_b64 exec, exec, s[16:17]
	s_and_b64 s[16:17], s[14:15], exec
	s_and_b64 s[14:15], s[20:21], exec
                                        ; implicit-def: $vgpr3
.LBB20_8:
	s_andn2_saveexec_b64 s[18:19], s[18:19]
	s_cbranch_execz .LBB20_12
; %bb.9:
	v_mov_b32_e32 v2, 44
	v_cmp_eq_u16_sdwa s[26:27], v3, v2 src0_sel:BYTE_0 src1_sel:DWORD
	s_mov_b64 s[24:25], -1
	s_mov_b64 s[22:23], s[16:17]
                                        ; implicit-def: $vgpr2
	s_and_saveexec_b64 s[20:21], s[26:27]
	s_cbranch_execz .LBB20_11
; %bb.10:
	flat_load_ubyte v2, v[0:1]
	s_movk_i32 s24, 0xff
	v_mov_b32_e32 v3, 0x7f800001
	v_mov_b32_e32 v4, 0x400000
	s_or_b64 s[22:23], s[16:17], exec
	s_waitcnt vmcnt(0) lgkmcnt(0)
	v_lshlrev_b32_e32 v5, 23, v2
	v_cmp_ne_u32_e32 vcc, s24, v2
	v_cndmask_b32_e32 v3, v3, v5, vcc
	v_cmp_ne_u32_e32 vcc, 0, v2
	v_cndmask_b32_e32 v2, v4, v3, vcc
	s_xor_b64 s[24:25], exec, -1
.LBB20_11:
	s_or_b64 exec, exec, s[20:21]
	s_andn2_b64 s[16:17], s[16:17], exec
	s_and_b64 s[20:21], s[22:23], exec
	s_or_b64 s[16:17], s[16:17], s[20:21]
	s_andn2_b64 s[14:15], s[14:15], exec
	s_and_b64 s[20:21], s[24:25], exec
	s_or_b64 s[14:15], s[14:15], s[20:21]
.LBB20_12:
	s_or_b64 exec, exec, s[18:19]
	s_and_b64 s[18:19], s[16:17], exec
	s_and_b64 s[16:17], s[14:15], exec
                                        ; implicit-def: $vgpr3
.LBB20_13:
	s_andn2_saveexec_b64 s[12:13], s[12:13]
	s_cbranch_execz .LBB20_17
; %bb.14:
	v_mov_b32_e32 v2, 29
	v_cmp_eq_u16_sdwa s[24:25], v3, v2 src0_sel:BYTE_0 src1_sel:DWORD
	s_mov_b64 s[20:21], -1
	s_mov_b64 s[22:23], s[18:19]
                                        ; implicit-def: $vgpr2
	s_and_saveexec_b64 s[14:15], s[24:25]
	s_cbranch_execz .LBB20_16
; %bb.15:
	flat_load_dwordx2 v[2:3], v[0:1]
	s_or_b64 s[22:23], s[18:19], exec
	s_xor_b64 s[20:21], exec, -1
	s_waitcnt vmcnt(0) lgkmcnt(0)
	v_ffbh_u32_e32 v4, v3
	v_min_u32_e32 v4, 32, v4
	v_lshlrev_b64 v[2:3], v4, v[2:3]
	v_min_u32_e32 v2, 1, v2
	v_or_b32_e32 v2, v3, v2
	v_cvt_f32_u32_e32 v2, v2
	v_sub_u32_e32 v3, 32, v4
	v_ldexp_f32 v2, v2, v3
.LBB20_16:
	s_or_b64 exec, exec, s[14:15]
	s_andn2_b64 s[14:15], s[18:19], exec
	s_and_b64 s[18:19], s[22:23], exec
	s_or_b64 s[18:19], s[14:15], s[18:19]
	s_andn2_b64 s[14:15], s[16:17], exec
	s_and_b64 s[16:17], s[20:21], exec
	s_or_b64 s[16:17], s[14:15], s[16:17]
.LBB20_17:
	s_or_b64 exec, exec, s[12:13]
	s_and_b64 s[14:15], s[18:19], exec
	s_and_b64 s[12:13], s[16:17], exec
                                        ; implicit-def: $vgpr3
.LBB20_18:
	s_andn2_saveexec_b64 s[8:9], s[8:9]
	s_cbranch_execz .LBB20_34
; %bb.19:
	v_mov_b32_e32 v2, 26
	v_cmp_gt_i16_sdwa s[16:17], v3, v2 src0_sel:BYTE_0 src1_sel:DWORD
                                        ; implicit-def: $vgpr2
	s_and_saveexec_b64 s[18:19], s[16:17]
	s_xor_b64 s[16:17], exec, s[18:19]
	s_cbranch_execz .LBB20_25
; %bb.20:
	v_mov_b32_e32 v2, 27
	v_cmp_gt_i16_sdwa s[18:19], v3, v2 src0_sel:BYTE_0 src1_sel:DWORD
                                        ; implicit-def: $vgpr2
	s_and_saveexec_b64 s[20:21], s[18:19]
	s_xor_b64 s[18:19], exec, s[20:21]
	s_cbranch_execz .LBB20_22
; %bb.21:
	flat_load_dword v2, v[0:1]
	s_waitcnt vmcnt(0) lgkmcnt(0)
	v_cvt_f32_u32_e32 v2, v2
.LBB20_22:
	s_andn2_saveexec_b64 s[18:19], s[18:19]
	s_cbranch_execz .LBB20_24
; %bb.23:
	flat_load_ushort v2, v[0:1]
	s_waitcnt vmcnt(0) lgkmcnt(0)
	v_cvt_f32_u32_e32 v2, v2
.LBB20_24:
	s_or_b64 exec, exec, s[18:19]
.LBB20_25:
	s_andn2_saveexec_b64 s[16:17], s[16:17]
	s_cbranch_execz .LBB20_33
; %bb.26:
	flat_load_ubyte v3, v[0:1]
	s_movk_i32 s18, 0x7f
	s_waitcnt vmcnt(0) lgkmcnt(0)
	v_cmp_lt_i16_e32 vcc, s18, v3
	s_mov_b64 s[18:19], 0
	s_and_saveexec_b64 s[20:21], vcc
	s_xor_b64 s[20:21], exec, s[20:21]
	s_cbranch_execz .LBB20_131
; %bb.27:
	s_movk_i32 s18, 0x80
	v_cmp_eq_u16_e32 vcc, s18, v3
	s_mov_b64 s[18:19], -1
	s_and_saveexec_b64 s[22:23], vcc
; %bb.28:
	s_xor_b64 s[18:19], exec, -1
; %bb.29:
	s_or_b64 exec, exec, s[22:23]
	s_and_b64 s[18:19], s[18:19], exec
	s_or_saveexec_b64 s[20:21], s[20:21]
	v_mov_b32_e32 v2, 0x7f800001
	s_xor_b64 exec, exec, s[20:21]
	s_cbranch_execnz .LBB20_132
.LBB20_30:
	s_or_b64 exec, exec, s[20:21]
	s_and_saveexec_b64 s[20:21], s[18:19]
	s_cbranch_execz .LBB20_32
.LBB20_31:
	v_lshlrev_b32_e32 v2, 24, v3
	v_and_b32_e32 v3, 0xffff, v3
	v_and_b32_e32 v4, 7, v3
	v_ffbh_u32_e32 v6, v4
	v_min_u32_e32 v6, 32, v6
	v_subrev_u32_e32 v7, 28, v6
	v_bfe_u32 v5, v3, 3, 4
	v_lshlrev_b32_e32 v3, v7, v3
	v_sub_u32_e32 v6, 29, v6
	v_and_b32_e32 v3, 7, v3
	v_cmp_eq_u32_e32 vcc, 0, v5
	v_cndmask_b32_e32 v5, v5, v6, vcc
	v_cndmask_b32_e32 v3, v4, v3, vcc
	v_mov_b32_e32 v4, 0x3b800000
	v_lshlrev_b32_e32 v3, 20, v3
	v_and_b32_e32 v2, 0x80000000, v2
	v_lshl_add_u32 v4, v5, 23, v4
	v_or3_b32 v2, v2, v4, v3
.LBB20_32:
	s_or_b64 exec, exec, s[20:21]
.LBB20_33:
	s_or_b64 exec, exec, s[16:17]
	s_or_b64 s[14:15], s[14:15], exec
.LBB20_34:
	s_or_b64 exec, exec, s[8:9]
	s_and_b64 s[8:9], s[14:15], exec
	s_and_b64 s[12:13], s[12:13], exec
                                        ; implicit-def: $vgpr3
	s_andn2_saveexec_b64 s[10:11], s[10:11]
	s_cbranch_execnz .LBB20_97
.LBB20_35:
	s_or_b64 exec, exec, s[10:11]
	s_and_saveexec_b64 s[10:11], s[12:13]
	s_cbranch_execnz .LBB20_122
.LBB20_36:
	s_or_b64 exec, exec, s[10:11]
	s_and_saveexec_b64 s[10:11], s[6:7]
	s_xor_b64 s[6:7], exec, s[10:11]
	s_cbranch_execz .LBB20_38
.LBB20_37:
	flat_load_ubyte v0, v[0:1]
	s_or_b64 s[8:9], s[8:9], exec
	s_waitcnt vmcnt(0) lgkmcnt(0)
	v_cmp_ne_u16_e32 vcc, 0, v0
	v_cndmask_b32_e64 v2, 0, 1.0, vcc
.LBB20_38:
	s_or_b64 exec, exec, s[6:7]
	s_and_b64 s[6:7], s[8:9], exec
                                        ; implicit-def: $vgpr3
                                        ; implicit-def: $vgpr0_vgpr1
	s_andn2_saveexec_b64 s[4:5], s[4:5]
	s_cbranch_execnz .LBB20_54
.LBB20_39:
	s_or_b64 exec, exec, s[4:5]
                                        ; implicit-def: $vgpr0
	s_and_saveexec_b64 s[10:11], s[6:7]
	s_cbranch_execz .LBB20_95
.LBB20_40:
	s_mov_b32 s4, 0x40a00000
	s_waitcnt vmcnt(0) lgkmcnt(0)
	v_cmp_ge_f32_e32 vcc, s4, v2
                                        ; implicit-def: $vgpr0
	s_and_saveexec_b64 s[4:5], vcc
	s_xor_b64 s[6:7], exec, s[4:5]
	s_cbranch_execz .LBB20_50
; %bb.41:
	v_cmp_neq_f32_e32 vcc, 0, v2
	v_mov_b32_e32 v0, 0xff800000
	s_and_saveexec_b64 s[8:9], vcc
	s_cbranch_execz .LBB20_49
; %bb.42:
	v_cmp_ngt_f32_e32 vcc, 0, v2
	v_mov_b32_e32 v0, 0x7fc00000
	s_and_saveexec_b64 s[12:13], vcc
	s_cbranch_execz .LBB20_48
; %bb.43:
	v_mul_f32_e32 v0, v2, v2
	s_mov_b32 s4, 0x3727c5ac
	v_mul_f32_e32 v3, 0, v0
	v_cmp_ngt_f32_e32 vcc, s4, v2
                                        ; implicit-def: $vgpr1
	s_and_saveexec_b64 s[4:5], vcc
	s_xor_b64 s[4:5], exec, s[4:5]
	s_cbranch_execz .LBB20_45
; %bb.44:
	v_add_f32_e32 v1, 0xcf8ee29d, v3
	v_mov_b32_e32 v4, 0x53e3ba8e
	v_fmac_f32_e32 v4, v0, v1
	v_mov_b32_e32 v1, 0xd762b0a7
	v_fmac_f32_e32 v1, v0, v4
	v_add_f32_e32 v4, 0x43f9c815, v3
	v_mov_b32_e32 v5, 0x4829b65a
	v_fmac_f32_e32 v5, v0, v4
	v_mov_b32_e32 v4, 0x4c38c9a1
	v_fmac_f32_e32 v4, v0, v5
	;; [unrolled: 2-line block ×8, first 2 shown]
	v_add_f32_e32 v1, 0xc0b90fdc, v0
	v_add_f32_e32 v6, 0xc1f3c525, v0
	v_mul_f32_e32 v1, v1, v6
	v_mul_f32_e32 v1, v1, v4
	v_div_scale_f32 v4, s[14:15], v5, v5, v1
	v_div_scale_f32 v6, vcc, v1, v5, v1
	v_rcp_f32_e32 v7, v4
	v_fma_f32 v8, -v4, v7, 1.0
	v_fmac_f32_e32 v7, v8, v7
	v_mul_f32_e32 v8, v6, v7
	v_fma_f32 v9, -v4, v8, v6
	v_fmac_f32_e32 v8, v9, v7
	v_fma_f32 v4, -v4, v8, v6
	v_div_fmas_f32 v4, v4, v7, v8
	v_div_fixup_f32 v1, v4, v5, v1
.LBB20_45:
	s_andn2_saveexec_b64 s[4:5], s[4:5]
; %bb.46:
	s_mov_b32 s14, 0xbe800000
	v_fma_f32 v1, v0, s14, 1.0
; %bb.47:
	s_or_b64 exec, exec, s[4:5]
	v_add_f32_e32 v4, 0x4673a1bf, v3
	v_mov_b32_e32 v5, 0xcb5fc0fa
	v_fmac_f32_e32 v5, v0, v4
	v_mov_b32_e32 v4, 0x4fa1fbc8
	v_fmac_f32_e32 v4, v0, v5
	;; [unrolled: 2-line block ×6, first 2 shown]
	v_add_f32_e32 v3, 0x44822913, v3
	v_mov_b32_e32 v5, 0x4918dbb5
	v_fmac_f32_e32 v5, v0, v3
	v_mov_b32_e32 v3, 0x4d803b1b
	v_fmac_f32_e32 v3, v0, v5
	v_mov_b32_e32 v5, 0x51a0eed9
	v_fmac_f32_e32 v5, v0, v3
	v_mov_b32_e32 v3, 0x5593afe6
	v_fmac_f32_e32 v3, v0, v5
	v_mov_b32_e32 v5, 0x59344887
	v_fmac_f32_e32 v5, v0, v3
	v_mov_b32_e32 v3, 0x5c5e92fe
	v_fmac_f32_e32 v3, v0, v5
	v_mov_b32_e32 v5, 0xda836a5b
	v_fmac_f32_e32 v5, v0, v4
	v_div_scale_f32 v0, s[4:5], v3, v3, v5
	v_div_scale_f32 v4, vcc, v5, v3, v5
	s_mov_b32 s4, 0x800000
	v_rcp_f32_e32 v6, v0
	v_fma_f32 v7, -v0, v6, 1.0
	v_fmac_f32_e32 v6, v7, v6
	v_mul_f32_e32 v7, v4, v6
	v_fma_f32 v8, -v0, v7, v4
	v_fmac_f32_e32 v7, v8, v6
	v_fma_f32 v0, -v0, v7, v4
	v_div_fmas_f32 v0, v0, v6, v7
	v_cmp_gt_f32_e32 vcc, s4, v2
	v_cndmask_b32_e64 v4, 0, 32, vcc
	v_ldexp_f32 v2, v2, v4
	v_log_f32_e32 v2, v2
	s_mov_b32 s4, 0x3f317217
	v_mul_f32_e32 v4, 0x3f317217, v2
	v_fma_f32 v4, v2, s4, -v4
	v_fmac_f32_e32 v4, 0x3377d1cf, v2
	s_mov_b32 s4, 0x7f800000
	v_fmac_f32_e32 v4, 0x3f317217, v2
	v_cmp_lt_f32_e64 s[4:5], |v2|, s4
	v_cndmask_b32_e64 v2, v2, v4, s[4:5]
	v_div_fixup_f32 v0, v0, v3, v5
	v_mov_b32_e32 v3, 0x41b17218
	v_cndmask_b32_e32 v3, 0, v3, vcc
	v_sub_f32_e32 v2, v2, v3
	v_mul_f32_e32 v2, 0x3f22f983, v2
	v_fmac_f32_e32 v0, v2, v1
.LBB20_48:
	s_or_b64 exec, exec, s[12:13]
.LBB20_49:
	s_or_b64 exec, exec, s[8:9]
                                        ; implicit-def: $vgpr2
.LBB20_50:
	s_andn2_saveexec_b64 s[12:13], s[6:7]
	s_cbranch_execz .LBB20_130
; %bb.51:
	v_add_f32_e32 v0, 0xbf490fdb, v2
	v_and_b32_e32 v1, 0x7fffffff, v0
	s_brev_b32 s4, 18
	v_cmp_nlt_f32_e64 s[14:15], |v0|, s4
	v_lshrrev_b32_e32 v7, 23, v1
                                        ; implicit-def: $vgpr3
                                        ; implicit-def: $vgpr4
	s_and_saveexec_b64 s[4:5], s[14:15]
	s_xor_b64 s[16:17], exec, s[4:5]
	s_cbranch_execz .LBB20_123
; %bb.52:
	v_and_b32_e32 v3, 0x7fffff, v1
	v_or_b32_e32 v6, 0x800000, v3
	s_mov_b32 s4, 0xfe5163ab
	v_mad_u64_u32 v[3:4], s[4:5], v6, s4, 0
	v_mov_b32_e32 v5, 0
	s_mov_b32 s4, 0x3c439041
	v_mad_u64_u32 v[8:9], s[4:5], v6, s4, v[4:5]
	s_mov_b32 s4, 0xdb629599
	v_add_u32_e32 v13, 0xffffff88, v7
	v_mov_b32_e32 v4, v9
	v_mad_u64_u32 v[9:10], s[4:5], v6, s4, v[4:5]
	s_mov_b32 s4, 0xf534ddc0
	v_not_b32_e32 v14, 63
	v_mov_b32_e32 v4, v10
	v_mad_u64_u32 v[10:11], s[4:5], v6, s4, v[4:5]
	s_mov_b32 s4, 0xfc2757d1
	v_cmp_lt_u32_e32 vcc, 63, v13
	v_mov_b32_e32 v4, v11
	v_mad_u64_u32 v[11:12], s[4:5], v6, s4, v[4:5]
	v_cndmask_b32_e32 v4, 0, v14, vcc
	v_add_u32_e32 v14, v4, v13
	v_mov_b32_e32 v4, v12
	s_mov_b32 s4, 0x4e441529
	v_mad_u64_u32 v[12:13], s[4:5], v6, s4, v[4:5]
	v_not_b32_e32 v15, 31
	v_cmp_lt_u32_e64 s[4:5], 31, v14
	v_cndmask_b32_e64 v4, 0, v15, s[4:5]
	v_add_u32_e32 v14, v4, v14
	v_mov_b32_e32 v4, v13
	s_mov_b32 s6, 0xa2f9836e
	v_mad_u64_u32 v[4:5], s[6:7], v6, s6, v[4:5]
	v_cmp_lt_u32_e64 s[6:7], 31, v14
	v_cndmask_b32_e64 v6, 0, v15, s[6:7]
	v_cndmask_b32_e32 v13, v12, v10, vcc
	v_cndmask_b32_e32 v4, v4, v11, vcc
	;; [unrolled: 1-line block ×3, first 2 shown]
	v_add_u32_e32 v6, v6, v14
	v_cndmask_b32_e64 v14, v4, v13, s[4:5]
	v_cndmask_b32_e64 v4, v5, v4, s[4:5]
	v_cndmask_b32_e32 v5, v11, v9, vcc
	v_cndmask_b32_e64 v11, v13, v5, s[4:5]
	v_cndmask_b32_e64 v4, v4, v14, s[6:7]
	;; [unrolled: 1-line block ×3, first 2 shown]
	v_sub_u32_e32 v13, 32, v6
	v_alignbit_b32 v14, v4, v12, v13
	v_cmp_eq_u32_e64 s[8:9], 0, v6
	v_cndmask_b32_e64 v6, v14, v4, s[8:9]
	v_cndmask_b32_e32 v4, v10, v8, vcc
	v_cndmask_b32_e64 v5, v5, v4, s[4:5]
	v_cndmask_b32_e64 v8, v11, v5, s[6:7]
	v_alignbit_b32 v10, v12, v8, v13
	v_cndmask_b32_e32 v3, v9, v3, vcc
	v_cndmask_b32_e64 v10, v10, v12, s[8:9]
	v_bfe_u32 v14, v6, 29, 1
	v_cndmask_b32_e64 v3, v4, v3, s[4:5]
	v_alignbit_b32 v11, v6, v10, 30
	v_sub_u32_e32 v15, 0, v14
	v_cndmask_b32_e64 v3, v5, v3, s[6:7]
	v_xor_b32_e32 v11, v11, v15
	v_alignbit_b32 v4, v8, v3, v13
	v_cndmask_b32_e64 v4, v4, v8, s[8:9]
	v_ffbh_u32_e32 v8, v11
	v_alignbit_b32 v5, v10, v4, 30
	v_min_u32_e32 v8, 32, v8
	v_alignbit_b32 v3, v4, v3, 30
	v_xor_b32_e32 v5, v5, v15
	v_sub_u32_e32 v9, 31, v8
	v_xor_b32_e32 v3, v3, v15
	v_alignbit_b32 v10, v11, v5, v9
	v_alignbit_b32 v3, v5, v3, v9
	;; [unrolled: 1-line block ×3, first 2 shown]
	v_ffbh_u32_e32 v5, v4
	v_min_u32_e32 v5, 32, v5
	v_lshrrev_b32_e32 v12, 29, v6
	v_not_b32_e32 v9, v5
	v_alignbit_b32 v3, v4, v3, v9
	v_lshlrev_b32_e32 v4, 31, v12
	v_or_b32_e32 v9, 0x33000000, v4
	v_add_lshl_u32 v5, v5, v8, 23
	v_lshrrev_b32_e32 v3, 9, v3
	v_sub_u32_e32 v5, v9, v5
	v_or_b32_e32 v4, 0.5, v4
	v_lshlrev_b32_e32 v8, 23, v8
	v_or_b32_e32 v3, v5, v3
	v_lshrrev_b32_e32 v5, 9, v10
	v_sub_u32_e32 v4, v4, v8
	v_or_b32_e32 v4, v5, v4
	s_mov_b32 s4, 0x3fc90fda
	v_mul_f32_e32 v5, 0x3fc90fda, v4
	v_fma_f32 v8, v4, s4, -v5
	v_fmac_f32_e32 v8, 0x33a22168, v4
	v_fmac_f32_e32 v8, 0x3fc90fda, v3
	v_lshrrev_b32_e32 v3, 30, v6
	v_add_f32_e32 v4, v5, v8
	v_add_u32_e32 v3, v14, v3
	s_andn2_saveexec_b64 s[4:5], s[16:17]
	s_cbranch_execz .LBB20_125
	s_branch .LBB20_124
.LBB20_53:
	s_andn2_saveexec_b64 s[4:5], s[4:5]
	s_cbranch_execz .LBB20_39
.LBB20_54:
	v_mov_b32_e32 v2, 4
	v_cmp_gt_i16_sdwa s[8:9], v3, v2 src0_sel:BYTE_0 src1_sel:DWORD
                                        ; implicit-def: $vgpr2
	s_and_saveexec_b64 s[10:11], s[8:9]
	s_xor_b64 s[8:9], exec, s[10:11]
	s_cbranch_execz .LBB20_76
; %bb.55:
	v_mov_b32_e32 v2, 7
	v_cmp_gt_i16_sdwa s[10:11], v3, v2 src0_sel:BYTE_0 src1_sel:DWORD
                                        ; implicit-def: $vgpr2
	s_and_saveexec_b64 s[12:13], s[10:11]
	s_xor_b64 s[10:11], exec, s[12:13]
	s_cbranch_execz .LBB20_65
; %bb.56:
	;; [unrolled: 7-line block ×4, first 2 shown]
	flat_load_dwordx2 v[0:1], v[0:1]
	s_waitcnt vmcnt(0) lgkmcnt(0)
	v_cvt_f32_f64_e32 v2, v[0:1]
                                        ; implicit-def: $vgpr0_vgpr1
.LBB20_59:
	s_andn2_saveexec_b64 s[14:15], s[14:15]
	s_cbranch_execz .LBB20_61
; %bb.60:
	flat_load_dword v2, v[0:1]
.LBB20_61:
	s_or_b64 exec, exec, s[14:15]
                                        ; implicit-def: $vgpr0_vgpr1
.LBB20_62:
	s_andn2_saveexec_b64 s[12:13], s[12:13]
	s_cbranch_execz .LBB20_64
; %bb.63:
	flat_load_dword v0, v[0:1]
	s_waitcnt vmcnt(0) lgkmcnt(0)
	v_cvt_f32_f16_e32 v2, v0
.LBB20_64:
	s_or_b64 exec, exec, s[12:13]
                                        ; implicit-def: $vgpr0_vgpr1
                                        ; implicit-def: $vgpr3
.LBB20_65:
	s_andn2_saveexec_b64 s[10:11], s[10:11]
	s_cbranch_execz .LBB20_75
; %bb.66:
	s_waitcnt vmcnt(0) lgkmcnt(0)
	v_mov_b32_e32 v2, 5
	v_cmp_gt_i16_sdwa s[12:13], v3, v2 src0_sel:BYTE_0 src1_sel:DWORD
                                        ; implicit-def: $vgpr2
	s_and_saveexec_b64 s[14:15], s[12:13]
	s_xor_b64 s[12:13], exec, s[14:15]
	s_cbranch_execz .LBB20_72
; %bb.67:
	v_mov_b32_e32 v2, 6
	v_cmp_gt_i16_sdwa s[14:15], v3, v2 src0_sel:BYTE_0 src1_sel:DWORD
                                        ; implicit-def: $vgpr2
	s_and_saveexec_b64 s[16:17], s[14:15]
	s_xor_b64 s[14:15], exec, s[16:17]
	s_cbranch_execz .LBB20_69
; %bb.68:
	flat_load_dwordx2 v[0:1], v[0:1]
	s_waitcnt vmcnt(0) lgkmcnt(0)
	v_cvt_f32_f64_e32 v2, v[0:1]
                                        ; implicit-def: $vgpr0_vgpr1
.LBB20_69:
	s_andn2_saveexec_b64 s[14:15], s[14:15]
	s_cbranch_execz .LBB20_71
; %bb.70:
	flat_load_dword v2, v[0:1]
.LBB20_71:
	s_or_b64 exec, exec, s[14:15]
                                        ; implicit-def: $vgpr0_vgpr1
.LBB20_72:
	s_andn2_saveexec_b64 s[12:13], s[12:13]
	s_cbranch_execz .LBB20_74
; %bb.73:
	flat_load_ushort v0, v[0:1]
	s_waitcnt vmcnt(0) lgkmcnt(0)
	v_cvt_f32_f16_e32 v2, v0
.LBB20_74:
	s_or_b64 exec, exec, s[12:13]
.LBB20_75:
	s_or_b64 exec, exec, s[10:11]
                                        ; implicit-def: $vgpr3
                                        ; implicit-def: $vgpr0_vgpr1
.LBB20_76:
	s_andn2_saveexec_b64 s[8:9], s[8:9]
	s_cbranch_execz .LBB20_94
; %bb.77:
	s_waitcnt vmcnt(0) lgkmcnt(0)
	v_mov_b32_e32 v2, 1
	v_cmp_gt_i16_sdwa s[10:11], v3, v2 src0_sel:BYTE_0 src1_sel:DWORD
                                        ; implicit-def: $vgpr2
	s_and_saveexec_b64 s[12:13], s[10:11]
	s_xor_b64 s[10:11], exec, s[12:13]
	s_cbranch_execz .LBB20_87
; %bb.78:
	v_mov_b32_e32 v2, 2
	v_cmp_gt_i16_sdwa s[12:13], v3, v2 src0_sel:BYTE_0 src1_sel:DWORD
                                        ; implicit-def: $vgpr2
	s_and_saveexec_b64 s[14:15], s[12:13]
	s_xor_b64 s[12:13], exec, s[14:15]
	s_cbranch_execz .LBB20_84
; %bb.79:
	;; [unrolled: 7-line block ×3, first 2 shown]
	flat_load_dwordx2 v[0:1], v[0:1]
	s_waitcnt vmcnt(0) lgkmcnt(0)
	v_xor_b32_e32 v3, v0, v1
	v_ffbh_i32_e32 v2, v1
	v_ashrrev_i32_e32 v3, 31, v3
	v_add_u32_e32 v2, -1, v2
	v_add_u32_e32 v3, 32, v3
	v_min_u32_e32 v2, v2, v3
	v_lshlrev_b64 v[0:1], v2, v[0:1]
	v_min_u32_e32 v0, 1, v0
	v_or_b32_e32 v0, v1, v0
	v_cvt_f32_i32_e32 v0, v0
	v_sub_u32_e32 v1, 32, v2
	v_ldexp_f32 v2, v0, v1
                                        ; implicit-def: $vgpr0_vgpr1
.LBB20_81:
	s_andn2_saveexec_b64 s[14:15], s[14:15]
	s_cbranch_execz .LBB20_83
; %bb.82:
	flat_load_dword v0, v[0:1]
	s_waitcnt vmcnt(0) lgkmcnt(0)
	v_cvt_f32_i32_e32 v2, v0
.LBB20_83:
	s_or_b64 exec, exec, s[14:15]
                                        ; implicit-def: $vgpr0_vgpr1
.LBB20_84:
	s_andn2_saveexec_b64 s[12:13], s[12:13]
	s_cbranch_execz .LBB20_86
; %bb.85:
	flat_load_sshort v0, v[0:1]
	s_waitcnt vmcnt(0) lgkmcnt(0)
	v_cvt_f32_i32_e32 v2, v0
.LBB20_86:
	s_or_b64 exec, exec, s[12:13]
                                        ; implicit-def: $vgpr0_vgpr1
                                        ; implicit-def: $vgpr3
.LBB20_87:
	s_andn2_saveexec_b64 s[10:11], s[10:11]
	s_cbranch_execz .LBB20_93
; %bb.88:
	v_mov_b32_e32 v2, 0
	v_cmp_gt_i16_sdwa s[12:13], v3, v2 src0_sel:BYTE_0 src1_sel:DWORD
                                        ; implicit-def: $vgpr2
	s_and_saveexec_b64 s[14:15], s[12:13]
	s_xor_b64 s[12:13], exec, s[14:15]
	s_cbranch_execz .LBB20_90
; %bb.89:
	flat_load_sbyte v0, v[0:1]
	s_waitcnt vmcnt(0) lgkmcnt(0)
	v_cvt_f32_i32_e32 v2, v0
                                        ; implicit-def: $vgpr0_vgpr1
.LBB20_90:
	s_andn2_saveexec_b64 s[12:13], s[12:13]
	s_cbranch_execz .LBB20_92
; %bb.91:
	flat_load_ubyte v0, v[0:1]
	s_waitcnt vmcnt(0) lgkmcnt(0)
	v_cvt_f32_ubyte0_e32 v2, v0
.LBB20_92:
	s_or_b64 exec, exec, s[12:13]
.LBB20_93:
	s_or_b64 exec, exec, s[10:11]
.LBB20_94:
	s_or_b64 exec, exec, s[8:9]
	s_or_b64 s[6:7], s[6:7], exec
	s_or_b64 exec, exec, s[4:5]
                                        ; implicit-def: $vgpr0
	s_and_saveexec_b64 s[10:11], s[6:7]
	s_cbranch_execnz .LBB20_40
.LBB20_95:
	s_or_b64 exec, exec, s[10:11]
	s_waitcnt vmcnt(0) lgkmcnt(0)
	s_setpc_b64 s[30:31]
.LBB20_96:
	s_andn2_saveexec_b64 s[10:11], s[10:11]
	s_cbranch_execz .LBB20_35
.LBB20_97:
	v_mov_b32_e32 v2, 22
	v_cmp_gt_i16_sdwa s[6:7], v3, v2 src0_sel:BYTE_0 src1_sel:DWORD
	s_mov_b64 s[14:15], s[8:9]
                                        ; implicit-def: $vgpr2
	s_and_saveexec_b64 s[16:17], s[6:7]
	s_xor_b64 s[6:7], exec, s[16:17]
	s_cbranch_execz .LBB20_113
; %bb.98:
	v_mov_b32_e32 v2, 23
	v_cmp_gt_i16_sdwa s[14:15], v3, v2 src0_sel:BYTE_0 src1_sel:DWORD
                                        ; implicit-def: $vgpr2
	s_and_saveexec_b64 s[16:17], s[14:15]
	s_xor_b64 s[14:15], exec, s[16:17]
	s_cbranch_execz .LBB20_110
; %bb.99:
	v_mov_b32_e32 v2, 24
	v_cmp_gt_i16_sdwa s[16:17], v3, v2 src0_sel:BYTE_0 src1_sel:DWORD
                                        ; implicit-def: $vgpr2
	s_and_saveexec_b64 s[18:19], s[16:17]
	s_xor_b64 s[16:17], exec, s[18:19]
	s_cbranch_execz .LBB20_107
; %bb.100:
	flat_load_ubyte v3, v[0:1]
	s_movk_i32 s18, 0x7f
	s_waitcnt vmcnt(0) lgkmcnt(0)
	v_cmp_lt_i16_e32 vcc, s18, v3
	s_mov_b64 s[18:19], 0
	s_and_saveexec_b64 s[20:21], vcc
	s_xor_b64 s[20:21], exec, s[20:21]
	s_cbranch_execz .LBB20_133
; %bb.101:
	s_movk_i32 s18, 0x80
	v_cmp_eq_u16_e32 vcc, s18, v3
	s_mov_b64 s[18:19], -1
	s_and_saveexec_b64 s[22:23], vcc
; %bb.102:
	s_xor_b64 s[18:19], exec, -1
; %bb.103:
	s_or_b64 exec, exec, s[22:23]
	s_and_b64 s[18:19], s[18:19], exec
	s_or_saveexec_b64 s[20:21], s[20:21]
	v_mov_b32_e32 v2, 0x7f800001
	s_xor_b64 exec, exec, s[20:21]
	s_cbranch_execnz .LBB20_134
.LBB20_104:
	s_or_b64 exec, exec, s[20:21]
	s_and_saveexec_b64 s[20:21], s[18:19]
	s_cbranch_execz .LBB20_106
.LBB20_105:
	v_lshlrev_b32_e32 v2, 24, v3
	v_and_b32_e32 v3, 0xffff, v3
	v_and_b32_e32 v4, 3, v3
	v_ffbh_u32_e32 v6, v4
	v_min_u32_e32 v6, 32, v6
	v_subrev_u32_e32 v7, 29, v6
	v_bfe_u32 v5, v3, 2, 5
	v_lshlrev_b32_e32 v3, v7, v3
	v_sub_u32_e32 v6, 30, v6
	v_and_b32_e32 v3, 3, v3
	v_cmp_eq_u32_e32 vcc, 0, v5
	v_cndmask_b32_e32 v5, v5, v6, vcc
	v_cndmask_b32_e32 v3, v4, v3, vcc
	v_mov_b32_e32 v4, 0x37800000
	v_lshlrev_b32_e32 v3, 21, v3
	v_and_b32_e32 v2, 0x80000000, v2
	v_lshl_add_u32 v4, v5, 23, v4
	v_or3_b32 v2, v2, v4, v3
.LBB20_106:
	s_or_b64 exec, exec, s[20:21]
.LBB20_107:
	s_andn2_saveexec_b64 s[16:17], s[16:17]
	s_cbranch_execz .LBB20_109
; %bb.108:
	flat_load_ubyte v2, v[0:1]
	s_mov_b32 s18, 0x7f800000
	s_waitcnt vmcnt(0) lgkmcnt(0)
	v_lshlrev_b32_e32 v2, 24, v2
	v_and_b32_e32 v3, 0x7f000000, v2
	v_ffbh_u32_e32 v4, v3
	v_min_u32_e32 v4, 32, v4
	v_sub_u32_e64 v4, v4, 4 clamp
	v_lshlrev_b32_e32 v6, v4, v3
	v_lshlrev_b32_e32 v4, 23, v4
	v_lshrrev_b32_e32 v6, 4, v6
	v_add_u32_e32 v5, 0x1000000, v3
	v_sub_u32_e32 v4, v6, v4
	v_ashrrev_i32_e32 v5, 8, v5
	v_add_u32_e32 v4, 0x3c000000, v4
	v_and_or_b32 v4, v5, s18, v4
	v_cmp_ne_u32_e32 vcc, 0, v3
	v_cndmask_b32_e32 v3, 0, v4, vcc
	s_brev_b32 s18, 1
	v_and_or_b32 v2, v2, s18, v3
.LBB20_109:
	s_or_b64 exec, exec, s[16:17]
.LBB20_110:
	s_andn2_saveexec_b64 s[14:15], s[14:15]
	s_cbranch_execz .LBB20_112
; %bb.111:
	flat_load_ubyte v2, v[0:1]
	s_movk_i32 s16, 0x7f00
	s_brev_b32 s17, 16
	s_waitcnt vmcnt(0) lgkmcnt(0)
	v_lshlrev_b16_e32 v3, 8, v2
	v_lshlrev_b32_e32 v2, 25, v2
	v_lshrrev_b32_e32 v4, 4, v2
	v_and_or_b32 v5, v3, s16, 0.5
	v_or_b32_e32 v4, 0x70000000, v4
	v_add_f32_e32 v5, -0.5, v5
	v_mul_f32_e32 v4, 0x7800000, v4
	v_cmp_gt_u32_e32 vcc, s17, v2
	v_bfe_i32 v3, v3, 0, 16
	v_cndmask_b32_e32 v2, v4, v5, vcc
	s_brev_b32 s16, 1
	v_and_or_b32 v2, v3, s16, v2
.LBB20_112:
	s_or_b64 exec, exec, s[14:15]
	s_or_b64 s[14:15], s[8:9], exec
                                        ; implicit-def: $vgpr3
.LBB20_113:
	s_or_saveexec_b64 s[6:7], s[6:7]
	s_mov_b64 s[18:19], 0
	s_mov_b64 s[16:17], s[12:13]
	s_xor_b64 exec, exec, s[6:7]
	s_cbranch_execz .LBB20_121
; %bb.114:
	v_mov_b32_e32 v2, 14
	v_cmp_gt_i16_sdwa s[20:21], v3, v2 src0_sel:BYTE_0 src1_sel:DWORD
	s_mov_b64 s[16:17], s[12:13]
	s_mov_b64 s[18:19], s[14:15]
                                        ; implicit-def: $vgpr2
	s_and_saveexec_b64 s[22:23], s[20:21]
	s_xor_b64 s[20:21], exec, s[22:23]
	s_cbranch_execz .LBB20_118
; %bb.115:
	v_mov_b32_e32 v2, 15
	v_cmp_eq_u16_sdwa s[24:25], v3, v2 src0_sel:BYTE_0 src1_sel:DWORD
	s_mov_b64 s[16:17], -1
	s_mov_b64 s[18:19], s[14:15]
                                        ; implicit-def: $vgpr2
	s_and_saveexec_b64 s[22:23], s[24:25]
	s_cbranch_execz .LBB20_117
; %bb.116:
	flat_load_ushort v2, v[0:1]
	s_or_b64 s[18:19], s[14:15], exec
	s_xor_b64 s[16:17], exec, -1
	s_waitcnt vmcnt(0) lgkmcnt(0)
	v_lshlrev_b32_e32 v2, 16, v2
.LBB20_117:
	s_or_b64 exec, exec, s[22:23]
	s_andn2_b64 s[22:23], s[14:15], exec
	s_and_b64 s[18:19], s[18:19], exec
	s_or_b64 s[18:19], s[22:23], s[18:19]
	s_andn2_b64 s[22:23], s[12:13], exec
	s_and_b64 s[16:17], s[16:17], exec
	s_or_b64 s[16:17], s[22:23], s[16:17]
                                        ; implicit-def: $vgpr3
.LBB20_118:
	s_or_saveexec_b64 s[20:21], s[20:21]
	s_mov_b64 s[22:23], 0
	s_xor_b64 exec, exec, s[20:21]
; %bb.119:
	v_mov_b32_e32 v4, 11
	v_cmp_ne_u16_sdwa s[24:25], v3, v4 src0_sel:BYTE_0 src1_sel:DWORD
	s_andn2_b64 s[16:17], s[16:17], exec
	s_and_b64 s[24:25], s[24:25], exec
	s_mov_b64 s[22:23], exec
	s_or_b64 s[16:17], s[16:17], s[24:25]
; %bb.120:
	s_or_b64 exec, exec, s[20:21]
	s_andn2_b64 s[14:15], s[14:15], exec
	s_and_b64 s[18:19], s[18:19], exec
	s_andn2_b64 s[20:21], s[12:13], exec
	s_and_b64 s[16:17], s[16:17], exec
	s_or_b64 s[14:15], s[14:15], s[18:19]
	s_and_b64 s[18:19], s[22:23], exec
	s_or_b64 s[16:17], s[20:21], s[16:17]
.LBB20_121:
	s_or_b64 exec, exec, s[6:7]
	s_andn2_b64 s[6:7], s[8:9], exec
	s_and_b64 s[8:9], s[14:15], exec
	s_andn2_b64 s[12:13], s[12:13], exec
	s_and_b64 s[14:15], s[16:17], exec
	s_or_b64 s[8:9], s[6:7], s[8:9]
	s_and_b64 s[6:7], s[18:19], exec
	s_or_b64 s[12:13], s[12:13], s[14:15]
	s_or_b64 exec, exec, s[10:11]
	s_and_saveexec_b64 s[10:11], s[12:13]
	s_cbranch_execz .LBB20_36
.LBB20_122:
	s_trap 2
	; divergent unreachable
	s_andn2_b64 s[6:7], s[6:7], exec
	s_or_b64 exec, exec, s[10:11]
	s_and_saveexec_b64 s[10:11], s[6:7]
	s_xor_b64 s[6:7], exec, s[10:11]
	s_cbranch_execnz .LBB20_37
	s_branch .LBB20_38
.LBB20_123:
	s_andn2_saveexec_b64 s[4:5], s[16:17]
	s_cbranch_execz .LBB20_125
.LBB20_124:
	s_mov_b32 s6, 0x3f22f983
	v_mul_f32_e64 v3, |v0|, s6
	v_rndne_f32_e32 v5, v3
	s_mov_b32 s6, 0xbfc90fda
	v_cvt_i32_f32_e32 v3, v5
	v_fma_f32 v4, v5, s6, |v0|
	v_fmac_f32_e32 v4, 0xb3a22168, v5
	v_fmac_f32_e32 v4, 0xa7c234c4, v5
.LBB20_125:
	s_or_b64 exec, exec, s[4:5]
                                        ; implicit-def: $vgpr5
                                        ; implicit-def: $vgpr6
	s_and_saveexec_b64 s[4:5], s[14:15]
	s_xor_b64 s[14:15], exec, s[4:5]
	s_cbranch_execz .LBB20_127
; %bb.126:
	v_and_b32_e32 v5, 0x7fffff, v1
	v_or_b32_e32 v14, 0x800000, v5
	s_mov_b32 s4, 0xfe5163ab
	v_mad_u64_u32 v[5:6], s[4:5], v14, s4, 0
	v_mov_b32_e32 v9, 0
	s_mov_b32 s4, 0x3c439041
	v_mov_b32_e32 v8, v6
	v_mad_u64_u32 v[10:11], s[4:5], v14, s4, v[8:9]
	s_mov_b32 s4, 0xdb629599
	v_add_u32_e32 v15, 0xffffff88, v7
	v_mov_b32_e32 v8, v11
	v_mad_u64_u32 v[11:12], s[4:5], v14, s4, v[8:9]
	s_mov_b32 s4, 0xf534ddc0
	v_not_b32_e32 v16, 63
	v_mov_b32_e32 v8, v12
	v_mad_u64_u32 v[12:13], s[4:5], v14, s4, v[8:9]
	s_mov_b32 s4, 0xfc2757d1
	v_cmp_lt_u32_e32 vcc, 63, v15
	v_mov_b32_e32 v8, v13
	v_mad_u64_u32 v[6:7], s[4:5], v14, s4, v[8:9]
	v_cndmask_b32_e32 v8, 0, v16, vcc
	v_add_u32_e32 v13, v8, v15
	v_mov_b32_e32 v8, v7
	s_mov_b32 s4, 0x4e441529
	v_mad_u64_u32 v[7:8], s[4:5], v14, s4, v[8:9]
	v_not_b32_e32 v15, 31
	v_cmp_lt_u32_e64 s[4:5], 31, v13
	s_mov_b32 s6, 0xa2f9836e
	v_cndmask_b32_e64 v16, 0, v15, s[4:5]
	v_mad_u64_u32 v[8:9], s[6:7], v14, s6, v[8:9]
	v_add_u32_e32 v13, v16, v13
	v_cmp_lt_u32_e64 s[6:7], 31, v13
	v_cndmask_b32_e64 v14, 0, v15, s[6:7]
	v_add_u32_e32 v13, v14, v13
	v_cndmask_b32_e32 v14, v7, v12, vcc
	v_cndmask_b32_e32 v8, v8, v6, vcc
	;; [unrolled: 1-line block ×4, first 2 shown]
	v_cndmask_b32_e64 v15, v8, v14, s[4:5]
	v_cndmask_b32_e64 v7, v7, v8, s[4:5]
	;; [unrolled: 1-line block ×3, first 2 shown]
	v_cndmask_b32_e32 v10, v12, v10, vcc
	v_cndmask_b32_e64 v7, v7, v15, s[6:7]
	v_cndmask_b32_e64 v9, v15, v8, s[6:7]
	v_sub_u32_e32 v14, 32, v13
	v_cndmask_b32_e64 v6, v6, v10, s[4:5]
	v_alignbit_b32 v15, v7, v9, v14
	v_cmp_eq_u32_e64 s[8:9], 0, v13
	v_cndmask_b32_e64 v8, v8, v6, s[6:7]
	v_cndmask_b32_e32 v5, v11, v5, vcc
	v_cndmask_b32_e64 v7, v15, v7, s[8:9]
	v_alignbit_b32 v12, v9, v8, v14
	v_cndmask_b32_e64 v5, v10, v5, s[4:5]
	v_cndmask_b32_e64 v9, v12, v9, s[8:9]
	v_bfe_u32 v15, v7, 29, 1
	v_cndmask_b32_e64 v5, v6, v5, s[6:7]
	v_alignbit_b32 v12, v7, v9, 30
	v_sub_u32_e32 v16, 0, v15
	v_alignbit_b32 v6, v8, v5, v14
	v_xor_b32_e32 v12, v12, v16
	v_cndmask_b32_e64 v6, v6, v8, s[8:9]
	v_alignbit_b32 v8, v9, v6, 30
	v_ffbh_u32_e32 v9, v12
	v_min_u32_e32 v9, 32, v9
	v_alignbit_b32 v5, v6, v5, 30
	v_xor_b32_e32 v8, v8, v16
	v_sub_u32_e32 v10, 31, v9
	v_xor_b32_e32 v5, v5, v16
	v_alignbit_b32 v11, v12, v8, v10
	v_alignbit_b32 v5, v8, v5, v10
	;; [unrolled: 1-line block ×3, first 2 shown]
	v_ffbh_u32_e32 v8, v6
	v_min_u32_e32 v8, 32, v8
	v_lshrrev_b32_e32 v13, 29, v7
	v_not_b32_e32 v10, v8
	v_alignbit_b32 v5, v6, v5, v10
	v_lshlrev_b32_e32 v6, 31, v13
	v_or_b32_e32 v10, 0x33000000, v6
	v_add_lshl_u32 v8, v8, v9, 23
	v_lshrrev_b32_e32 v5, 9, v5
	v_sub_u32_e32 v8, v10, v8
	v_or_b32_e32 v6, 0.5, v6
	v_lshlrev_b32_e32 v9, 23, v9
	v_or_b32_e32 v5, v8, v5
	v_lshrrev_b32_e32 v8, 9, v11
	v_sub_u32_e32 v6, v6, v9
	v_or_b32_e32 v6, v8, v6
	s_mov_b32 s4, 0x3fc90fda
	v_mul_f32_e32 v8, 0x3fc90fda, v6
	v_fma_f32 v9, v6, s4, -v8
	v_fmac_f32_e32 v9, 0x33a22168, v6
	v_fmac_f32_e32 v9, 0x3fc90fda, v5
	v_lshrrev_b32_e32 v5, 30, v7
	v_add_f32_e32 v6, v8, v9
	v_add_u32_e32 v5, v15, v5
	s_andn2_saveexec_b64 s[4:5], s[14:15]
	s_cbranch_execnz .LBB20_128
	s_branch .LBB20_129
.LBB20_127:
	s_andn2_saveexec_b64 s[4:5], s[14:15]
	s_cbranch_execz .LBB20_129
.LBB20_128:
	s_mov_b32 s6, 0x3f22f983
	v_mul_f32_e64 v5, |v0|, s6
	v_rndne_f32_e32 v7, v5
	s_mov_b32 s6, 0xbfc90fda
	v_cvt_i32_f32_e32 v5, v7
	v_fma_f32 v6, v7, s6, |v0|
	v_fmac_f32_e32 v6, 0xb3a22168, v7
	v_fmac_f32_e32 v6, 0xa7c234c4, v7
.LBB20_129:
	s_or_b64 exec, exec, s[4:5]
	v_mul_f32_e32 v7, v2, v2
	s_mov_b32 s6, 0x41c80000
	v_div_scale_f32 v8, s[4:5], v7, v7, s6
	v_div_scale_f32 v9, vcc, s6, v7, s6
	v_mov_b32_e32 v15, 0x3a725406
	v_mov_b32_e32 v16, 0x3daf5e2d
	;; [unrolled: 1-line block ×7, first 2 shown]
	v_xor_b32_e32 v1, v1, v0
	v_rcp_f32_e32 v10, v8
	v_fma_f32 v11, -v8, v10, 1.0
	v_fmac_f32_e32 v10, v11, v10
	v_mul_f32_e32 v11, v9, v10
	v_fma_f32 v12, -v8, v11, v9
	v_fmac_f32_e32 v11, v12, v10
	v_fma_f32 v8, -v8, v11, v9
	v_div_fmas_f32 v8, v8, v10, v11
	v_mov_b32_e32 v9, 0x3a50e985
	v_mov_b32_e32 v10, 0x3da9a586
	;; [unrolled: 1-line block ×4, first 2 shown]
	v_div_fixup_f32 v7, v8, v7, s6
	v_fmac_f32_e32 v9, 0, v7
	v_fmac_f32_e32 v15, 0, v7
	;; [unrolled: 1-line block ×8, first 2 shown]
	v_mov_b32_e32 v8, 0x40a9cb2f
	v_fmac_f32_e32 v13, v7, v12
	v_fmac_f32_e32 v19, v7, v18
	;; [unrolled: 1-line block ×4, first 2 shown]
	v_fma_f32 v8, v7, v8, 1.0
	v_fma_f32 v9, v7, v14, 1.0
	v_div_scale_f32 v10, s[4:5], v8, v8, v9
	v_div_scale_f32 v11, vcc, v9, v8, v9
	v_mov_b32_e32 v12, 0xbc3a3a12
	v_mov_b32_e32 v13, 0xbfa429da
	v_fmac_f32_e32 v12, 0, v7
	v_mov_b32_e32 v15, 0xc19c6e80
	v_fmac_f32_e32 v13, v7, v12
	;; [unrolled: 2-line block ×4, first 2 shown]
	s_mov_b32 s6, 0x40a00000
	v_fmac_f32_e32 v17, v7, v16
	v_div_scale_f32 v16, s[4:5], v2, v2, s6
	v_rcp_f32_e32 v14, v10
	v_mov_b32_e32 v12, 0x44561b86
	v_mov_b32_e32 v13, 0x45e243be
	;; [unrolled: 1-line block ×3, first 2 shown]
	v_fma_f32 v18, -v10, v14, 1.0
	v_fmac_f32_e32 v14, v18, v14
	v_mul_f32_e32 v18, v11, v14
	v_fma_f32 v19, -v10, v18, v11
	v_fmac_f32_e32 v18, v19, v14
	v_fma_f32 v10, -v10, v18, v11
	v_div_fmas_f32 v10, v10, v14, v18
	v_mov_b32_e32 v18, 0x4280a2ba
	v_fmac_f32_e32 v18, 0, v7
	v_fmac_f32_e32 v12, v7, v18
	v_mov_b32_e32 v18, 0x4572a66e
	v_fmac_f32_e32 v18, v7, v12
	v_mov_b32_e32 v12, 0x45b955d1
	;; [unrolled: 2-line block ×4, first 2 shown]
	v_fmac_f32_e32 v19, v7, v17
	v_fmac_f32_e32 v15, v7, v12
	v_div_scale_f32 v12, vcc, s6, v2, s6
	v_mov_b32_e32 v14, 0xc0c19ac7
	v_mov_b32_e32 v18, 0x43720178
	v_fmac_f32_e32 v11, v7, v19
	v_fmac_f32_e32 v18, v7, v15
	;; [unrolled: 1-line block ×3, first 2 shown]
	v_div_fixup_f32 v7, v10, v8, v9
	v_div_scale_f32 v8, s[4:5], v18, v18, v14
	v_div_scale_f32 v15, s[4:5], v14, v18, v14
	v_mul_f32_e32 v13, v4, v4
	v_mov_b32_e32 v9, 0x3c0881c4
	v_rcp_f32_e32 v11, v16
	v_fmac_f32_e32 v9, 0xb94c1982, v13
	v_mov_b32_e32 v10, 0xbe2aaa9d
	v_fma_f32 v9, v13, v9, v10
	v_mul_f32_e32 v9, v13, v9
	v_fmac_f32_e32 v4, v4, v9
	v_fma_f32 v9, -v16, v11, 1.0
	v_fmac_f32_e32 v11, v9, v11
	v_mul_f32_e32 v9, v12, v11
	v_fma_f32 v19, -v16, v9, v12
	v_fmac_f32_e32 v9, v19, v11
	v_fma_f32 v12, -v16, v9, v12
	v_rcp_f32_e32 v16, v8
	v_div_fmas_f32 v9, v12, v11, v9
	s_mov_b64 vcc, s[4:5]
	s_movk_i32 s4, 0x1f8
	v_fma_f32 v11, -v8, v16, 1.0
	v_fmac_f32_e32 v16, v11, v16
	v_mul_f32_e32 v11, v15, v16
	v_fma_f32 v12, -v8, v11, v15
	v_fmac_f32_e32 v11, v12, v16
	v_fma_f32 v8, -v8, v11, v15
	v_div_fmas_f32 v8, v8, v16, v11
	v_mov_b32_e32 v12, 0xbab64f3b
	v_fmac_f32_e32 v12, 0x37d75334, v13
	v_mov_b32_e32 v15, 0x3d2aabf7
	v_fma_f32 v12, v13, v12, v15
	v_mov_b32_e32 v11, 0xbf000004
	v_fma_f32 v12, v13, v12, v11
	v_fma_f32 v12, v13, v12, 1.0
	v_and_b32_e32 v13, 1, v3
	v_lshlrev_b32_e32 v3, 30, v3
	v_cmp_eq_u32_e32 vcc, 0, v13
	v_and_b32_e32 v3, 0x80000000, v3
	v_cndmask_b32_e32 v4, v12, v4, vcc
	v_xor_b32_e32 v1, v1, v3
	v_xor_b32_e32 v1, v1, v4
	v_mov_b32_e32 v3, 0x7fc00000
	v_cmp_class_f32_e64 vcc, v0, s4
	v_cndmask_b32_e32 v0, v3, v1, vcc
	v_div_fixup_f32 v1, v9, v2, s6
	v_div_fixup_f32 v4, v8, v18, v14
	v_mov_b32_e32 v17, 0x3c0881c4
	v_mul_f32_e32 v1, v1, v4
	v_mul_f32_e32 v4, v6, v6
	v_mov_b32_e32 v19, 0xbab64f3b
	v_fmac_f32_e32 v17, 0xb94c1982, v4
	v_fmac_f32_e32 v10, v4, v17
	;; [unrolled: 1-line block ×3, first 2 shown]
	v_mul_f32_e32 v8, v4, v10
	v_fmac_f32_e32 v15, v4, v19
	v_fmac_f32_e32 v6, v6, v8
	;; [unrolled: 1-line block ×3, first 2 shown]
	v_and_b32_e32 v8, 1, v5
	v_fma_f32 v4, v4, v11, 1.0
	v_cmp_eq_u32_e64 s[4:5], 0, v8
	v_lshlrev_b32_e32 v5, 30, v5
	v_cndmask_b32_e64 v4, -v6, v4, s[4:5]
	v_and_b32_e32 v5, 0x80000000, v5
	v_xor_b32_e32 v4, v5, v4
	s_mov_b32 s4, 0xf800000
	v_cndmask_b32_e32 v3, v3, v4, vcc
	v_mul_f32_e32 v4, 0x4f800000, v2
	v_cmp_gt_f32_e32 vcc, s4, v2
	v_cndmask_b32_e32 v2, v2, v4, vcc
	v_sqrt_f32_e32 v4, v2
	v_mul_f32_e32 v1, v1, v3
	v_fmac_f32_e32 v1, v7, v0
	v_mul_f32_e32 v0, 0x3f4c422a, v1
	v_add_u32_e32 v1, -1, v4
	v_fma_f32 v3, -v1, v4, v2
	v_cmp_ge_f32_e64 s[4:5], 0, v3
	v_add_u32_e32 v3, 1, v4
	v_cndmask_b32_e64 v1, v4, v1, s[4:5]
	v_fma_f32 v4, -v3, v4, v2
	v_cmp_lt_f32_e64 s[4:5], 0, v4
	v_cndmask_b32_e64 v1, v1, v3, s[4:5]
	v_mul_f32_e32 v3, 0x37800000, v1
	v_cndmask_b32_e32 v1, v1, v3, vcc
	v_mov_b32_e32 v3, 0x260
	v_cmp_class_f32_e32 vcc, v2, v3
	v_cndmask_b32_e32 v1, v1, v2, vcc
	v_div_scale_f32 v2, s[4:5], v1, v1, v0
	v_div_scale_f32 v3, vcc, v0, v1, v0
	v_rcp_f32_e32 v4, v2
	v_fma_f32 v5, -v2, v4, 1.0
	v_fmac_f32_e32 v4, v5, v4
	v_mul_f32_e32 v5, v3, v4
	v_fma_f32 v6, -v2, v5, v3
	v_fmac_f32_e32 v5, v6, v4
	v_fma_f32 v2, -v2, v5, v3
	v_div_fmas_f32 v2, v2, v4, v5
	v_div_fixup_f32 v0, v2, v1, v0
.LBB20_130:
	s_or_b64 exec, exec, s[12:13]
	s_or_b64 exec, exec, s[10:11]
	s_setpc_b64 s[30:31]
.LBB20_131:
	s_or_saveexec_b64 s[20:21], s[20:21]
	v_mov_b32_e32 v2, 0x7f800001
	s_xor_b64 exec, exec, s[20:21]
	s_cbranch_execz .LBB20_30
.LBB20_132:
	v_cmp_ne_u16_e32 vcc, 0, v3
	s_andn2_b64 s[18:19], s[18:19], exec
	s_and_b64 s[22:23], vcc, exec
	v_mov_b32_e32 v2, 0
	s_or_b64 s[18:19], s[18:19], s[22:23]
	s_or_b64 exec, exec, s[20:21]
	s_and_saveexec_b64 s[20:21], s[18:19]
	s_cbranch_execnz .LBB20_31
	s_branch .LBB20_32
.LBB20_133:
	s_or_saveexec_b64 s[20:21], s[20:21]
	v_mov_b32_e32 v2, 0x7f800001
	s_xor_b64 exec, exec, s[20:21]
	s_cbranch_execz .LBB20_104
.LBB20_134:
	v_cmp_ne_u16_e32 vcc, 0, v3
	s_andn2_b64 s[18:19], s[18:19], exec
	s_and_b64 s[22:23], vcc, exec
	v_mov_b32_e32 v2, 0
	s_or_b64 s[18:19], s[18:19], s[22:23]
	s_or_b64 exec, exec, s[20:21]
	s_and_saveexec_b64 s[20:21], s[18:19]
	s_cbranch_execnz .LBB20_105
	s_branch .LBB20_106
.Lfunc_end20:
	.size	_ZN2at6native6invokeIZZZNS0_12_GLOBAL__N_121bessel_y0_kernel_cudaERNS_18TensorIteratorBaseEENKUlvE_clEvENKUlvE0_clEvEUlfE_i15function_traitsIS7_EEENT1_11result_typeERKT_PrKPcPKT0_PKN3c1010ScalarTypeEi, .Lfunc_end20-_ZN2at6native6invokeIZZZNS0_12_GLOBAL__N_121bessel_y0_kernel_cudaERNS_18TensorIteratorBaseEENKUlvE_clEvENKUlvE0_clEvEUlfE_i15function_traitsIS7_EEENT1_11result_typeERKT_PrKPcPKT0_PKN3c1010ScalarTypeEi
                                        ; -- End function
	.set .L_ZN2at6native6invokeIZZZNS0_12_GLOBAL__N_121bessel_y0_kernel_cudaERNS_18TensorIteratorBaseEENKUlvE_clEvENKUlvE0_clEvEUlfE_i15function_traitsIS7_EEENT1_11result_typeERKT_PrKPcPKT0_PKN3c1010ScalarTypeEi.num_vgpr, 20
	.set .L_ZN2at6native6invokeIZZZNS0_12_GLOBAL__N_121bessel_y0_kernel_cudaERNS_18TensorIteratorBaseEENKUlvE_clEvENKUlvE0_clEvEUlfE_i15function_traitsIS7_EEENT1_11result_typeERKT_PrKPcPKT0_PKN3c1010ScalarTypeEi.num_agpr, 0
	.set .L_ZN2at6native6invokeIZZZNS0_12_GLOBAL__N_121bessel_y0_kernel_cudaERNS_18TensorIteratorBaseEENKUlvE_clEvENKUlvE0_clEvEUlfE_i15function_traitsIS7_EEENT1_11result_typeERKT_PrKPcPKT0_PKN3c1010ScalarTypeEi.numbered_sgpr, 32
	.set .L_ZN2at6native6invokeIZZZNS0_12_GLOBAL__N_121bessel_y0_kernel_cudaERNS_18TensorIteratorBaseEENKUlvE_clEvENKUlvE0_clEvEUlfE_i15function_traitsIS7_EEENT1_11result_typeERKT_PrKPcPKT0_PKN3c1010ScalarTypeEi.num_named_barrier, 0
	.set .L_ZN2at6native6invokeIZZZNS0_12_GLOBAL__N_121bessel_y0_kernel_cudaERNS_18TensorIteratorBaseEENKUlvE_clEvENKUlvE0_clEvEUlfE_i15function_traitsIS7_EEENT1_11result_typeERKT_PrKPcPKT0_PKN3c1010ScalarTypeEi.private_seg_size, 0
	.set .L_ZN2at6native6invokeIZZZNS0_12_GLOBAL__N_121bessel_y0_kernel_cudaERNS_18TensorIteratorBaseEENKUlvE_clEvENKUlvE0_clEvEUlfE_i15function_traitsIS7_EEENT1_11result_typeERKT_PrKPcPKT0_PKN3c1010ScalarTypeEi.uses_vcc, 1
	.set .L_ZN2at6native6invokeIZZZNS0_12_GLOBAL__N_121bessel_y0_kernel_cudaERNS_18TensorIteratorBaseEENKUlvE_clEvENKUlvE0_clEvEUlfE_i15function_traitsIS7_EEENT1_11result_typeERKT_PrKPcPKT0_PKN3c1010ScalarTypeEi.uses_flat_scratch, 0
	.set .L_ZN2at6native6invokeIZZZNS0_12_GLOBAL__N_121bessel_y0_kernel_cudaERNS_18TensorIteratorBaseEENKUlvE_clEvENKUlvE0_clEvEUlfE_i15function_traitsIS7_EEENT1_11result_typeERKT_PrKPcPKT0_PKN3c1010ScalarTypeEi.has_dyn_sized_stack, 0
	.set .L_ZN2at6native6invokeIZZZNS0_12_GLOBAL__N_121bessel_y0_kernel_cudaERNS_18TensorIteratorBaseEENKUlvE_clEvENKUlvE0_clEvEUlfE_i15function_traitsIS7_EEENT1_11result_typeERKT_PrKPcPKT0_PKN3c1010ScalarTypeEi.has_recursion, 0
	.set .L_ZN2at6native6invokeIZZZNS0_12_GLOBAL__N_121bessel_y0_kernel_cudaERNS_18TensorIteratorBaseEENKUlvE_clEvENKUlvE0_clEvEUlfE_i15function_traitsIS7_EEENT1_11result_typeERKT_PrKPcPKT0_PKN3c1010ScalarTypeEi.has_indirect_call, 0
	.section	.AMDGPU.csdata,"",@progbits
; Function info:
; codeLenInByte = 5696
; TotalNumSgprs: 36
; NumVgprs: 20
; ScratchSize: 0
; MemoryBound: 1
	.section	.text._ZN2at6native32elementwise_kernel_manual_unrollILi128ELi4EZNS0_15gpu_kernel_implIZZZNS0_12_GLOBAL__N_121bessel_y0_kernel_cudaERNS_18TensorIteratorBaseEENKUlvE_clEvENKUlvE0_clEvEUlfE_EEvS5_RKT_EUlibE_EEviT1_,"axG",@progbits,_ZN2at6native32elementwise_kernel_manual_unrollILi128ELi4EZNS0_15gpu_kernel_implIZZZNS0_12_GLOBAL__N_121bessel_y0_kernel_cudaERNS_18TensorIteratorBaseEENKUlvE_clEvENKUlvE0_clEvEUlfE_EEvS5_RKT_EUlibE_EEviT1_,comdat
	.globl	_ZN2at6native32elementwise_kernel_manual_unrollILi128ELi4EZNS0_15gpu_kernel_implIZZZNS0_12_GLOBAL__N_121bessel_y0_kernel_cudaERNS_18TensorIteratorBaseEENKUlvE_clEvENKUlvE0_clEvEUlfE_EEvS5_RKT_EUlibE_EEviT1_ ; -- Begin function _ZN2at6native32elementwise_kernel_manual_unrollILi128ELi4EZNS0_15gpu_kernel_implIZZZNS0_12_GLOBAL__N_121bessel_y0_kernel_cudaERNS_18TensorIteratorBaseEENKUlvE_clEvENKUlvE0_clEvEUlfE_EEvS5_RKT_EUlibE_EEviT1_
	.p2align	8
	.type	_ZN2at6native32elementwise_kernel_manual_unrollILi128ELi4EZNS0_15gpu_kernel_implIZZZNS0_12_GLOBAL__N_121bessel_y0_kernel_cudaERNS_18TensorIteratorBaseEENKUlvE_clEvENKUlvE0_clEvEUlfE_EEvS5_RKT_EUlibE_EEviT1_,@function
_ZN2at6native32elementwise_kernel_manual_unrollILi128ELi4EZNS0_15gpu_kernel_implIZZZNS0_12_GLOBAL__N_121bessel_y0_kernel_cudaERNS_18TensorIteratorBaseEENKUlvE_clEvENKUlvE0_clEvEUlfE_EEvS5_RKT_EUlibE_EEviT1_: ; @_ZN2at6native32elementwise_kernel_manual_unrollILi128ELi4EZNS0_15gpu_kernel_implIZZZNS0_12_GLOBAL__N_121bessel_y0_kernel_cudaERNS_18TensorIteratorBaseEENKUlvE_clEvENKUlvE0_clEvEUlfE_EEvS5_RKT_EUlibE_EEviT1_
; %bb.0:
	v_mov_b32_e32 v1, 0
	global_load_ushort v1, v1, s[4:5] offset:33
	s_load_dword s54, s[4:5], 0x0
	s_load_dwordx2 s[28:29], s[4:5], 0x18
	s_load_dwordx4 s[36:39], s[4:5], 0x8
	v_lshl_or_b32 v23, s6, 9, v0
	s_add_u32 s0, s0, s7
	v_mov_b32_e32 v2, 8
	v_or_b32_e32 v25, 0x180, v23
	s_addc_u32 s1, s1, 0
	s_mov_b64 s[34:35], 0
	s_waitcnt lgkmcnt(0)
	v_cmp_le_i32_e32 vcc, s54, v25
	s_mov_b64 s[42:43], 0
	s_mov_b32 s32, 0
	s_waitcnt vmcnt(0)
	v_readfirstlane_b32 s33, v1
	v_lshrrev_b32_sdwa v24, v2, v1 dst_sel:DWORD dst_unused:UNUSED_PAD src0_sel:DWORD src1_sel:WORD_0
	s_and_saveexec_b64 s[4:5], vcc
	s_xor_b64 s[40:41], exec, s[4:5]
	s_cbranch_execz .LBB21_508
; %bb.1:
	v_cmp_gt_i32_e32 vcc, s54, v23
	s_mov_b64 s[4:5], -1
	s_mov_b64 s[48:49], 0
	s_and_saveexec_b64 s[44:45], vcc
	s_cbranch_execz .LBB21_124
; %bb.2:
	s_getpc_b64 s[4:5]
	s_add_u32 s4, s4, _ZN2at6native6invokeIZZZNS0_12_GLOBAL__N_121bessel_y0_kernel_cudaERNS_18TensorIteratorBaseEENKUlvE_clEvENKUlvE0_clEvEUlfE_i15function_traitsIS7_EEENT1_11result_typeERKT_PrKPcPKT0_PKN3c1010ScalarTypeEi@rel32@lo+4
	s_addc_u32 s5, s5, _ZN2at6native6invokeIZZZNS0_12_GLOBAL__N_121bessel_y0_kernel_cudaERNS_18TensorIteratorBaseEENKUlvE_clEvENKUlvE0_clEvEUlfE_i15function_traitsIS7_EEENT1_11result_typeERKT_PrKPcPKT0_PKN3c1010ScalarTypeEi@rel32@hi+12
	v_mov_b32_e32 v0, s38
	v_mov_b32_e32 v1, s39
	;; [unrolled: 1-line block ×5, first 2 shown]
	s_swappc_b64 s[30:31], s[4:5]
	v_mul_lo_u32 v1, v23, s28
	v_mov_b32_e32 v3, s37
	s_and_b32 s12, s33, 0xff
	s_cmp_lt_i32 s12, 11
	v_ashrrev_i32_e32 v4, 31, v1
	v_add_co_u32_e32 v2, vcc, s36, v1
	v_addc_co_u32_e32 v3, vcc, v3, v4, vcc
	s_cbranch_scc1 .LBB21_9
; %bb.3:
	s_and_b32 s13, 0xffff, s12
	s_cmp_gt_i32 s13, 25
	s_cbranch_scc0 .LBB21_12
; %bb.4:
	s_cmp_gt_i32 s13, 28
	s_cbranch_scc0 .LBB21_13
; %bb.5:
	;; [unrolled: 3-line block ×4, first 2 shown]
	s_mov_b64 s[8:9], 0
	s_mov_b64 s[4:5], -1
	s_cmp_eq_u32 s13, 46
	s_mov_b64 s[6:7], 0
	s_cbranch_scc0 .LBB21_16
; %bb.8:
	v_bfe_u32 v1, v0, 16, 1
	s_movk_i32 s4, 0x7fff
	v_add3_u32 v1, v0, v1, s4
	v_cmp_o_f32_e32 vcc, v0, v0
	v_mov_b32_e32 v4, 0x7fc0
	v_cndmask_b32_sdwa v1, v4, v1, vcc dst_sel:DWORD dst_unused:UNUSED_PAD src0_sel:DWORD src1_sel:WORD_1
	global_store_dword v[2:3], v1, off
	s_mov_b64 s[6:7], -1
	s_mov_b64 s[4:5], 0
	s_branch .LBB21_16
.LBB21_9:
	s_mov_b64 s[4:5], 0
	s_mov_b64 s[6:7], 0
	s_cbranch_execnz .LBB21_84
.LBB21_10:
	s_andn2_b64 vcc, exec, s[6:7]
	s_cbranch_vccnz .LBB21_122
.LBB21_11:
	v_add_u32_e32 v23, 0x80, v23
	s_mov_b64 s[6:7], -1
	s_branch .LBB21_123
.LBB21_12:
	s_mov_b64 s[4:5], 0
	s_mov_b64 s[6:7], 0
	s_cbranch_execnz .LBB21_43
	s_branch .LBB21_83
.LBB21_13:
	s_mov_b64 s[8:9], -1
	s_mov_b64 s[4:5], 0
	s_mov_b64 s[6:7], 0
	s_branch .LBB21_26
.LBB21_14:
	s_mov_b64 s[8:9], -1
	s_mov_b64 s[4:5], 0
	s_mov_b64 s[6:7], 0
	s_branch .LBB21_22
.LBB21_15:
	s_mov_b64 s[8:9], -1
	s_mov_b64 s[4:5], 0
	s_mov_b64 s[6:7], 0
.LBB21_16:
	s_and_b64 vcc, exec, s[8:9]
	s_cbranch_vccz .LBB21_21
; %bb.17:
	s_cmp_eq_u32 s13, 44
	s_mov_b64 s[4:5], -1
	s_cbranch_scc0 .LBB21_21
; %bb.18:
	v_bfe_u32 v1, v0, 23, 8
	s_movk_i32 s4, 0xff
	v_cmp_ne_u32_e32 vcc, s4, v1
	v_mov_b32_e32 v4, 0xff
	s_and_saveexec_b64 s[6:7], vcc
; %bb.19:
	s_mov_b32 s4, 0x3fffff
	v_and_b32_e32 v5, 0x400000, v0
	v_and_or_b32 v1, v0, s4, v1
	v_cmp_ne_u32_e32 vcc, 0, v5
	v_cmp_ne_u32_e64 s[4:5], 0, v1
	s_and_b64 s[4:5], vcc, s[4:5]
	v_lshrrev_b32_e32 v4, 23, v0
	v_cndmask_b32_e64 v1, 0, 1, s[4:5]
	v_add_u32_e32 v4, v4, v1
; %bb.20:
	s_or_b64 exec, exec, s[6:7]
	s_mov_b64 s[6:7], -1
	s_mov_b64 s[4:5], 0
	global_store_byte v[2:3], v4, off
.LBB21_21:
	s_mov_b64 s[8:9], 0
.LBB21_22:
	s_and_b64 vcc, exec, s[8:9]
	s_cbranch_vccz .LBB21_25
; %bb.23:
	s_cmp_eq_u32 s13, 29
	s_mov_b64 s[4:5], -1
	s_cbranch_scc0 .LBB21_25
; %bb.24:
	v_trunc_f32_e32 v1, v0
	v_mul_f32_e32 v4, 0x2f800000, v1
	v_floor_f32_e32 v4, v4
	v_fmac_f32_e32 v1, 0xcf800000, v4
	v_cvt_u32_f32_e32 v5, v4
	v_cvt_u32_f32_e32 v4, v1
	s_mov_b64 s[6:7], -1
	s_mov_b64 s[4:5], 0
	s_mov_b64 s[8:9], 0
	global_store_dwordx2 v[2:3], v[4:5], off
	s_branch .LBB21_26
.LBB21_25:
	s_mov_b64 s[8:9], 0
.LBB21_26:
	s_and_b64 vcc, exec, s[8:9]
	s_cbranch_vccz .LBB21_42
; %bb.27:
	s_cmp_lt_i32 s13, 27
	s_mov_b64 s[6:7], -1
	s_cbranch_scc1 .LBB21_33
; %bb.28:
	v_cvt_u32_f32_e32 v1, v0
	s_cmp_gt_i32 s13, 27
	s_cbranch_scc0 .LBB21_30
; %bb.29:
	s_mov_b64 s[6:7], 0
	global_store_dword v[2:3], v1, off
.LBB21_30:
	s_andn2_b64 vcc, exec, s[6:7]
	s_cbranch_vccnz .LBB21_32
; %bb.31:
	global_store_short v[2:3], v1, off
.LBB21_32:
	s_mov_b64 s[6:7], 0
.LBB21_33:
	s_andn2_b64 vcc, exec, s[6:7]
	s_cbranch_vccnz .LBB21_41
; %bb.34:
	v_and_b32_e32 v1, 0x7fffffff, v0
	s_mov_b32 s6, 0x43800000
	v_cmp_gt_u32_e32 vcc, s6, v1
	v_mov_b32_e32 v4, 0x80
	s_and_saveexec_b64 s[6:7], vcc
	s_cbranch_execz .LBB21_40
; %bb.35:
	s_mov_b32 s8, 0x3bffffff
	v_cmp_lt_u32_e32 vcc, s8, v1
	s_mov_b64 s[8:9], 0
                                        ; implicit-def: $vgpr1
	s_and_saveexec_b64 s[10:11], vcc
	s_xor_b64 s[10:11], exec, s[10:11]
	s_cbranch_execz .LBB21_141
; %bb.36:
	v_bfe_u32 v1, v0, 20, 1
	s_mov_b32 s14, 0x487ffff
	v_add3_u32 v1, v0, v1, s14
	s_mov_b64 s[8:9], exec
	v_lshrrev_b32_e32 v1, 20, v1
	s_andn2_saveexec_b64 s[10:11], s[10:11]
	s_cbranch_execnz .LBB21_142
.LBB21_37:
	s_or_b64 exec, exec, s[10:11]
	v_mov_b32_e32 v4, 0
	s_and_saveexec_b64 s[10:11], s[8:9]
.LBB21_38:
	v_lshrrev_b32_e32 v4, 24, v0
	s_movk_i32 s8, 0x80
	v_and_or_b32 v4, v4, s8, v1
.LBB21_39:
	s_or_b64 exec, exec, s[10:11]
.LBB21_40:
	s_or_b64 exec, exec, s[6:7]
	global_store_byte v[2:3], v4, off
.LBB21_41:
	s_mov_b64 s[6:7], -1
.LBB21_42:
	s_branch .LBB21_83
.LBB21_43:
	s_cmp_gt_i32 s13, 22
	s_mov_b64 s[8:9], -1
	s_cbranch_scc0 .LBB21_75
; %bb.44:
	s_cmp_lt_i32 s13, 24
	s_mov_b64 s[6:7], -1
	s_cbranch_scc1 .LBB21_64
; %bb.45:
	s_cmp_gt_i32 s13, 24
	s_cbranch_scc0 .LBB21_53
; %bb.46:
	v_and_b32_e32 v1, 0x7fffffff, v0
	s_mov_b32 s6, 0x47800000
	v_cmp_gt_u32_e32 vcc, s6, v1
	v_mov_b32_e32 v4, 0x80
	s_and_saveexec_b64 s[6:7], vcc
	s_cbranch_execz .LBB21_52
; %bb.47:
	s_mov_b32 s8, 0x37ffffff
	v_cmp_lt_u32_e32 vcc, s8, v1
	s_mov_b64 s[8:9], 0
                                        ; implicit-def: $vgpr1
	s_and_saveexec_b64 s[10:11], vcc
	s_xor_b64 s[10:11], exec, s[10:11]
	s_cbranch_execz .LBB21_144
; %bb.48:
	v_bfe_u32 v1, v0, 21, 1
	s_mov_b32 s14, 0x88fffff
	v_add3_u32 v1, v0, v1, s14
	s_mov_b64 s[8:9], exec
	v_lshrrev_b32_e32 v1, 21, v1
	s_andn2_saveexec_b64 s[10:11], s[10:11]
	s_cbranch_execnz .LBB21_145
.LBB21_49:
	s_or_b64 exec, exec, s[10:11]
	v_mov_b32_e32 v4, 0
	s_and_saveexec_b64 s[10:11], s[8:9]
.LBB21_50:
	v_lshrrev_b32_e32 v4, 24, v0
	s_movk_i32 s8, 0x80
	v_and_or_b32 v4, v4, s8, v1
.LBB21_51:
	s_or_b64 exec, exec, s[10:11]
.LBB21_52:
	s_or_b64 exec, exec, s[6:7]
	s_mov_b64 s[6:7], 0
	global_store_byte v[2:3], v4, off
.LBB21_53:
	s_and_b64 vcc, exec, s[6:7]
	s_cbranch_vccz .LBB21_63
; %bb.54:
	v_and_b32_e32 v4, 0x7fffffff, v0
	s_mov_b32 s6, 0x43f00000
	v_cmp_gt_u32_e32 vcc, s6, v4
                                        ; implicit-def: $vgpr1
	s_and_saveexec_b64 s[6:7], vcc
	s_xor_b64 s[6:7], exec, s[6:7]
	s_cbranch_execz .LBB21_60
; %bb.55:
	s_mov_b32 s8, 0x3c7fffff
	v_cmp_lt_u32_e32 vcc, s8, v4
                                        ; implicit-def: $vgpr1
	s_and_saveexec_b64 s[8:9], vcc
	s_xor_b64 s[8:9], exec, s[8:9]
; %bb.56:
	v_bfe_u32 v1, v0, 20, 1
	s_mov_b32 s10, 0x407ffff
	v_add3_u32 v1, v0, v1, s10
	v_lshrrev_b32_e32 v4, 20, v1
	v_and_b32_e32 v1, 0xff00000, v1
	s_mov_b32 s10, 0x7f00000
	v_mov_b32_e32 v5, 0x7e
	v_cmp_ne_u32_e32 vcc, s10, v1
	v_cndmask_b32_e32 v1, v5, v4, vcc
; %bb.57:
	s_andn2_saveexec_b64 s[8:9], s[8:9]
; %bb.58:
	s_mov_b32 s10, 0x46800000
	v_add_f32_e64 v1, |v0|, s10
; %bb.59:
	s_or_b64 exec, exec, s[8:9]
                                        ; implicit-def: $vgpr4
.LBB21_60:
	s_andn2_saveexec_b64 s[6:7], s[6:7]
; %bb.61:
	s_mov_b32 s8, 0x7f800000
	v_mov_b32_e32 v1, 0x7e
	v_mov_b32_e32 v5, 0x7f
	v_cmp_lt_u32_e32 vcc, s8, v4
	v_cndmask_b32_e32 v1, v1, v5, vcc
; %bb.62:
	s_or_b64 exec, exec, s[6:7]
	v_lshrrev_b32_e32 v4, 24, v0
	s_movk_i32 s6, 0x80
	v_and_or_b32 v1, v4, s6, v1
	global_store_byte v[2:3], v1, off
.LBB21_63:
	s_mov_b64 s[6:7], 0
.LBB21_64:
	s_andn2_b64 vcc, exec, s[6:7]
	s_cbranch_vccnz .LBB21_74
; %bb.65:
	v_and_b32_e32 v4, 0x7fffffff, v0
	s_mov_b32 s6, 0x47800000
	v_cmp_gt_u32_e32 vcc, s6, v4
                                        ; implicit-def: $vgpr1
	s_and_saveexec_b64 s[6:7], vcc
	s_xor_b64 s[6:7], exec, s[6:7]
	s_cbranch_execz .LBB21_71
; %bb.66:
	s_mov_b32 s8, 0x387fffff
	v_cmp_lt_u32_e32 vcc, s8, v4
                                        ; implicit-def: $vgpr1
	s_and_saveexec_b64 s[8:9], vcc
	s_xor_b64 s[8:9], exec, s[8:9]
; %bb.67:
	v_bfe_u32 v1, v0, 21, 1
	s_mov_b32 s10, 0x80fffff
	v_add3_u32 v1, v0, v1, s10
	v_lshrrev_b32_e32 v1, 21, v1
; %bb.68:
	s_andn2_saveexec_b64 s[8:9], s[8:9]
; %bb.69:
	s_mov_b32 s10, 0x43000000
	v_add_f32_e64 v1, |v0|, s10
; %bb.70:
	s_or_b64 exec, exec, s[8:9]
                                        ; implicit-def: $vgpr4
.LBB21_71:
	s_andn2_saveexec_b64 s[6:7], s[6:7]
; %bb.72:
	s_mov_b32 s8, 0x7f800000
	v_mov_b32_e32 v1, 0x7c
	v_mov_b32_e32 v5, 0x7f
	v_cmp_lt_u32_e32 vcc, s8, v4
	v_cndmask_b32_e32 v1, v1, v5, vcc
; %bb.73:
	s_or_b64 exec, exec, s[6:7]
	v_lshrrev_b32_e32 v4, 24, v0
	s_movk_i32 s6, 0x80
	v_and_or_b32 v1, v4, s6, v1
	global_store_byte v[2:3], v1, off
.LBB21_74:
	s_mov_b64 s[8:9], 0
	s_mov_b64 s[6:7], -1
.LBB21_75:
	s_andn2_b64 vcc, exec, s[8:9]
	s_cbranch_vccnz .LBB21_83
; %bb.76:
	s_cmp_gt_i32 s13, 14
	s_mov_b64 s[8:9], -1
	s_cbranch_scc0 .LBB21_80
; %bb.77:
	s_cmp_eq_u32 s13, 15
	s_mov_b64 s[4:5], -1
	s_cbranch_scc0 .LBB21_79
; %bb.78:
	v_bfe_u32 v1, v0, 16, 1
	s_movk_i32 s4, 0x7fff
	v_add3_u32 v1, v0, v1, s4
	v_cmp_o_f32_e32 vcc, v0, v0
	v_mov_b32_e32 v4, 0x7fc0
	v_cndmask_b32_sdwa v1, v4, v1, vcc dst_sel:DWORD dst_unused:UNUSED_PAD src0_sel:DWORD src1_sel:WORD_1
	global_store_short v[2:3], v1, off
	s_mov_b64 s[6:7], -1
	s_mov_b64 s[4:5], 0
.LBB21_79:
	s_mov_b64 s[8:9], 0
.LBB21_80:
	s_and_b64 vcc, exec, s[8:9]
	s_cbranch_vccz .LBB21_83
; %bb.81:
	s_cmp_eq_u32 s13, 11
	s_mov_b64 s[4:5], -1
	s_cbranch_scc0 .LBB21_83
; %bb.82:
	v_cmp_neq_f32_e32 vcc, 0, v0
	v_cndmask_b32_e64 v1, 0, 1, vcc
	s_mov_b64 s[6:7], -1
	s_mov_b64 s[4:5], 0
	global_store_byte v[2:3], v1, off
.LBB21_83:
	s_branch .LBB21_10
.LBB21_84:
	s_and_b32 s8, 0xffff, s12
	s_cmp_lt_i32 s8, 5
	s_mov_b64 s[6:7], -1
	s_cbranch_scc1 .LBB21_105
; %bb.85:
	s_cmp_lt_i32 s8, 8
	s_cbranch_scc1 .LBB21_95
; %bb.86:
	s_cmp_lt_i32 s8, 9
	s_cbranch_scc1 .LBB21_92
; %bb.87:
	s_cmp_gt_i32 s8, 9
	s_cbranch_scc0 .LBB21_89
; %bb.88:
	v_cvt_f64_f32_e32 v[4:5], v0
	v_mov_b32_e32 v6, 0
	v_mov_b32_e32 v7, v6
	s_mov_b64 s[6:7], 0
	global_store_dwordx4 v[2:3], v[4:7], off
.LBB21_89:
	s_andn2_b64 vcc, exec, s[6:7]
	s_cbranch_vccnz .LBB21_91
; %bb.90:
	v_mov_b32_e32 v1, 0
	global_store_dwordx2 v[2:3], v[0:1], off
.LBB21_91:
	s_mov_b64 s[6:7], 0
.LBB21_92:
	s_andn2_b64 vcc, exec, s[6:7]
	s_cbranch_vccnz .LBB21_94
; %bb.93:
	v_cvt_f16_f32_e32 v1, v0
	global_store_dword v[2:3], v1, off
.LBB21_94:
	s_mov_b64 s[6:7], 0
.LBB21_95:
	s_andn2_b64 vcc, exec, s[6:7]
	s_cbranch_vccnz .LBB21_104
; %bb.96:
	s_cmp_lt_i32 s8, 6
	s_mov_b64 s[6:7], -1
	s_cbranch_scc1 .LBB21_102
; %bb.97:
	s_cmp_gt_i32 s8, 6
	s_cbranch_scc0 .LBB21_99
; %bb.98:
	v_cvt_f64_f32_e32 v[4:5], v0
	s_mov_b64 s[6:7], 0
	global_store_dwordx2 v[2:3], v[4:5], off
.LBB21_99:
	s_andn2_b64 vcc, exec, s[6:7]
	s_cbranch_vccnz .LBB21_101
; %bb.100:
	global_store_dword v[2:3], v0, off
.LBB21_101:
	s_mov_b64 s[6:7], 0
.LBB21_102:
	s_andn2_b64 vcc, exec, s[6:7]
	s_cbranch_vccnz .LBB21_104
; %bb.103:
	v_cvt_f16_f32_e32 v1, v0
	global_store_short v[2:3], v1, off
.LBB21_104:
	s_mov_b64 s[6:7], 0
.LBB21_105:
	s_andn2_b64 vcc, exec, s[6:7]
	s_cbranch_vccnz .LBB21_121
; %bb.106:
	s_cmp_lt_i32 s8, 2
	s_mov_b64 s[6:7], -1
	s_cbranch_scc1 .LBB21_116
; %bb.107:
	s_cmp_lt_i32 s8, 3
	s_cbranch_scc1 .LBB21_113
; %bb.108:
	s_cmp_gt_i32 s8, 3
	s_cbranch_scc0 .LBB21_110
; %bb.109:
	v_trunc_f32_e32 v1, v0
	s_mov_b32 s6, 0x2f800000
	v_mul_f32_e64 v4, |v1|, s6
	v_floor_f32_e32 v4, v4
	s_mov_b32 s6, 0xcf800000
	v_cvt_u32_f32_e32 v5, v4
	v_fma_f32 v4, v4, s6, |v1|
	v_cvt_u32_f32_e32 v4, v4
	v_ashrrev_i32_e32 v1, 31, v1
	v_xor_b32_e32 v5, v5, v1
	s_mov_b64 s[6:7], 0
	v_xor_b32_e32 v4, v4, v1
	v_sub_co_u32_e32 v4, vcc, v4, v1
	v_subb_co_u32_e32 v5, vcc, v5, v1, vcc
	global_store_dwordx2 v[2:3], v[4:5], off
.LBB21_110:
	s_andn2_b64 vcc, exec, s[6:7]
	s_cbranch_vccnz .LBB21_112
; %bb.111:
	v_cvt_i32_f32_e32 v1, v0
	global_store_dword v[2:3], v1, off
.LBB21_112:
	s_mov_b64 s[6:7], 0
.LBB21_113:
	s_andn2_b64 vcc, exec, s[6:7]
	s_cbranch_vccnz .LBB21_115
; %bb.114:
	v_cvt_i32_f32_e32 v1, v0
	global_store_short v[2:3], v1, off
.LBB21_115:
	s_mov_b64 s[6:7], 0
.LBB21_116:
	s_andn2_b64 vcc, exec, s[6:7]
	s_cbranch_vccnz .LBB21_121
; %bb.117:
	s_cmp_gt_i32 s8, 0
	s_mov_b64 s[6:7], -1
	s_cbranch_scc0 .LBB21_119
; %bb.118:
	v_cvt_i32_f32_e32 v1, v0
	s_mov_b64 s[6:7], 0
	global_store_byte v[2:3], v1, off
.LBB21_119:
	s_andn2_b64 vcc, exec, s[6:7]
	s_cbranch_vccnz .LBB21_121
; %bb.120:
	v_trunc_f32_e32 v0, v0
	s_mov_b32 s6, 0x2f800000
	v_mul_f32_e64 v1, |v0|, s6
	v_floor_f32_e32 v1, v1
	s_mov_b32 s6, 0xcf800000
	v_fma_f32 v1, v1, s6, |v0|
	v_cvt_u32_f32_e32 v1, v1
	v_ashrrev_i32_e32 v0, 31, v0
	v_xor_b32_e32 v1, v1, v0
	v_sub_u32_e32 v0, v1, v0
	global_store_byte v[2:3], v0, off
.LBB21_121:
	s_branch .LBB21_11
.LBB21_122:
	s_mov_b64 s[6:7], 0
                                        ; implicit-def: $vgpr23
.LBB21_123:
	s_and_b64 s[42:43], s[4:5], exec
	s_orn2_b64 s[4:5], s[6:7], exec
.LBB21_124:
	s_or_b64 exec, exec, s[44:45]
	s_mov_b64 s[6:7], 0
                                        ; implicit-def: $sgpr14
                                        ; implicit-def: $vgpr2_vgpr3
                                        ; implicit-def: $vgpr0
	s_and_saveexec_b64 s[44:45], s[4:5]
	s_cbranch_execz .LBB21_133
; %bb.125:
	v_cmp_gt_i32_e32 vcc, s54, v23
	s_mov_b64 s[8:9], -1
	s_mov_b64 s[46:47], s[42:43]
	s_and_saveexec_b64 s[48:49], vcc
	s_cbranch_execz .LBB21_256
; %bb.126:
	s_getpc_b64 s[4:5]
	s_add_u32 s4, s4, _ZN2at6native6invokeIZZZNS0_12_GLOBAL__N_121bessel_y0_kernel_cudaERNS_18TensorIteratorBaseEENKUlvE_clEvENKUlvE0_clEvEUlfE_i15function_traitsIS7_EEENT1_11result_typeERKT_PrKPcPKT0_PKN3c1010ScalarTypeEi@rel32@lo+4
	s_addc_u32 s5, s5, _ZN2at6native6invokeIZZZNS0_12_GLOBAL__N_121bessel_y0_kernel_cudaERNS_18TensorIteratorBaseEENKUlvE_clEvENKUlvE0_clEvEUlfE_i15function_traitsIS7_EEENT1_11result_typeERKT_PrKPcPKT0_PKN3c1010ScalarTypeEi@rel32@hi+12
	v_mov_b32_e32 v0, s38
	v_mov_b32_e32 v1, s39
	;; [unrolled: 1-line block ×5, first 2 shown]
	s_swappc_b64 s[30:31], s[4:5]
	v_mul_lo_u32 v1, v23, s28
	v_mov_b32_e32 v3, s37
	s_and_b32 s12, s33, 0xff
	s_cmp_lt_i32 s12, 11
	v_ashrrev_i32_e32 v4, 31, v1
	v_add_co_u32_e32 v2, vcc, s36, v1
	v_addc_co_u32_e32 v3, vcc, v3, v4, vcc
	s_cbranch_scc1 .LBB21_136
; %bb.127:
	s_and_b32 s13, 0xffff, s12
	s_cmp_gt_i32 s13, 25
	s_cbranch_scc0 .LBB21_139
; %bb.128:
	s_cmp_gt_i32 s13, 28
	s_cbranch_scc0 .LBB21_140
; %bb.129:
	s_cmp_gt_i32 s13, 43
	s_cbranch_scc0 .LBB21_143
; %bb.130:
	s_cmp_gt_i32 s13, 45
	s_cbranch_scc0 .LBB21_146
; %bb.131:
	s_mov_b64 s[8:9], 0
	s_mov_b64 s[4:5], -1
	s_cmp_eq_u32 s13, 46
	s_mov_b64 s[6:7], 0
	s_cbranch_scc0 .LBB21_147
; %bb.132:
	v_bfe_u32 v1, v0, 16, 1
	s_movk_i32 s4, 0x7fff
	v_add3_u32 v1, v0, v1, s4
	v_cmp_o_f32_e32 vcc, v0, v0
	v_mov_b32_e32 v4, 0x7fc0
	v_cndmask_b32_sdwa v1, v4, v1, vcc dst_sel:DWORD dst_unused:UNUSED_PAD src0_sel:DWORD src1_sel:WORD_1
	global_store_dword v[2:3], v1, off
	s_mov_b64 s[6:7], -1
	s_mov_b64 s[4:5], 0
	s_branch .LBB21_147
.LBB21_133:
	s_or_b64 exec, exec, s[44:45]
	s_mov_b64 s[4:5], 0
	s_and_saveexec_b64 s[8:9], s[42:43]
	s_cbranch_execnz .LBB21_468
.LBB21_134:
	s_or_b64 exec, exec, s[8:9]
	s_and_saveexec_b64 s[8:9], s[48:49]
	s_xor_b64 s[8:9], exec, s[8:9]
	s_cbranch_execz .LBB21_469
.LBB21_135:
	v_cmp_neq_f32_e32 vcc, 0, v0
	v_cndmask_b32_e64 v1, 0, 1, vcc
	global_store_byte v[2:3], v1, off
	s_or_b64 exec, exec, s[8:9]
	s_and_saveexec_b64 s[8:9], s[6:7]
	s_xor_b64 s[6:7], exec, s[8:9]
	s_cbranch_execz .LBB21_507
	s_branch .LBB21_470
.LBB21_136:
	s_mov_b64 s[6:7], 0
	s_mov_b64 s[4:5], s[42:43]
	s_cbranch_execnz .LBB21_216
.LBB21_137:
	s_andn2_b64 vcc, exec, s[6:7]
	s_cbranch_vccnz .LBB21_254
.LBB21_138:
	v_add_u32_e32 v23, 0x80, v23
	s_mov_b64 s[6:7], -1
	s_branch .LBB21_255
.LBB21_139:
	s_mov_b64 s[8:9], -1
	s_mov_b64 s[6:7], 0
	s_mov_b64 s[4:5], s[42:43]
	s_branch .LBB21_174
.LBB21_140:
	s_mov_b64 s[8:9], -1
	s_mov_b64 s[6:7], 0
	s_mov_b64 s[4:5], s[42:43]
	s_branch .LBB21_157
.LBB21_141:
	s_andn2_saveexec_b64 s[10:11], s[10:11]
	s_cbranch_execz .LBB21_37
.LBB21_142:
	s_mov_b32 s14, 0x46000000
	v_add_f32_e64 v1, |v0|, s14
	v_and_b32_e32 v1, 0xff, v1
	v_cmp_ne_u32_e32 vcc, 0, v1
	s_andn2_b64 s[8:9], s[8:9], exec
	s_and_b64 s[14:15], vcc, exec
	s_or_b64 s[8:9], s[8:9], s[14:15]
	s_or_b64 exec, exec, s[10:11]
	v_mov_b32_e32 v4, 0
	s_and_saveexec_b64 s[10:11], s[8:9]
	s_cbranch_execnz .LBB21_38
	s_branch .LBB21_39
.LBB21_143:
	s_mov_b64 s[8:9], -1
	s_mov_b64 s[6:7], 0
	s_mov_b64 s[4:5], s[42:43]
	s_branch .LBB21_153
.LBB21_144:
	s_andn2_saveexec_b64 s[10:11], s[10:11]
	s_cbranch_execz .LBB21_49
.LBB21_145:
	s_mov_b32 s14, 0x42800000
	v_add_f32_e64 v1, |v0|, s14
	v_and_b32_e32 v1, 0xff, v1
	v_cmp_ne_u32_e32 vcc, 0, v1
	s_andn2_b64 s[8:9], s[8:9], exec
	s_and_b64 s[14:15], vcc, exec
	s_or_b64 s[8:9], s[8:9], s[14:15]
	s_or_b64 exec, exec, s[10:11]
	v_mov_b32_e32 v4, 0
	s_and_saveexec_b64 s[10:11], s[8:9]
	s_cbranch_execnz .LBB21_50
	s_branch .LBB21_51
.LBB21_146:
	s_mov_b64 s[8:9], -1
	s_mov_b64 s[6:7], 0
	s_mov_b64 s[4:5], s[42:43]
.LBB21_147:
	s_and_b64 vcc, exec, s[8:9]
	s_cbranch_vccz .LBB21_152
; %bb.148:
	s_cmp_eq_u32 s13, 44
	s_mov_b64 s[4:5], -1
	s_cbranch_scc0 .LBB21_152
; %bb.149:
	v_bfe_u32 v1, v0, 23, 8
	s_movk_i32 s4, 0xff
	v_cmp_ne_u32_e32 vcc, s4, v1
	v_mov_b32_e32 v4, 0xff
	s_and_saveexec_b64 s[6:7], vcc
; %bb.150:
	s_mov_b32 s4, 0x3fffff
	v_and_b32_e32 v5, 0x400000, v0
	v_and_or_b32 v1, v0, s4, v1
	v_cmp_ne_u32_e32 vcc, 0, v5
	v_cmp_ne_u32_e64 s[4:5], 0, v1
	s_and_b64 s[4:5], vcc, s[4:5]
	v_lshrrev_b32_e32 v4, 23, v0
	v_cndmask_b32_e64 v1, 0, 1, s[4:5]
	v_add_u32_e32 v4, v4, v1
; %bb.151:
	s_or_b64 exec, exec, s[6:7]
	s_mov_b64 s[6:7], -1
	s_mov_b64 s[4:5], 0
	global_store_byte v[2:3], v4, off
.LBB21_152:
	s_mov_b64 s[8:9], 0
.LBB21_153:
	s_and_b64 vcc, exec, s[8:9]
	s_cbranch_vccz .LBB21_156
; %bb.154:
	s_cmp_eq_u32 s13, 29
	s_mov_b64 s[4:5], -1
	s_cbranch_scc0 .LBB21_156
; %bb.155:
	v_trunc_f32_e32 v1, v0
	v_mul_f32_e32 v4, 0x2f800000, v1
	v_floor_f32_e32 v4, v4
	v_fmac_f32_e32 v1, 0xcf800000, v4
	v_cvt_u32_f32_e32 v5, v4
	v_cvt_u32_f32_e32 v4, v1
	s_mov_b64 s[6:7], -1
	s_mov_b64 s[4:5], 0
	s_mov_b64 s[8:9], 0
	global_store_dwordx2 v[2:3], v[4:5], off
	s_branch .LBB21_157
.LBB21_156:
	s_mov_b64 s[8:9], 0
.LBB21_157:
	s_and_b64 vcc, exec, s[8:9]
	s_cbranch_vccz .LBB21_173
; %bb.158:
	s_cmp_lt_i32 s13, 27
	s_mov_b64 s[6:7], -1
	s_cbranch_scc1 .LBB21_164
; %bb.159:
	v_cvt_u32_f32_e32 v1, v0
	s_cmp_gt_i32 s13, 27
	s_cbranch_scc0 .LBB21_161
; %bb.160:
	s_mov_b64 s[6:7], 0
	global_store_dword v[2:3], v1, off
.LBB21_161:
	s_andn2_b64 vcc, exec, s[6:7]
	s_cbranch_vccnz .LBB21_163
; %bb.162:
	global_store_short v[2:3], v1, off
.LBB21_163:
	s_mov_b64 s[6:7], 0
.LBB21_164:
	s_andn2_b64 vcc, exec, s[6:7]
	s_cbranch_vccnz .LBB21_172
; %bb.165:
	v_and_b32_e32 v1, 0x7fffffff, v0
	s_mov_b32 s6, 0x43800000
	v_cmp_gt_u32_e32 vcc, s6, v1
	v_mov_b32_e32 v4, 0x80
	s_and_saveexec_b64 s[6:7], vcc
	s_cbranch_execz .LBB21_171
; %bb.166:
	s_mov_b32 s8, 0x3bffffff
	v_cmp_lt_u32_e32 vcc, s8, v1
	s_mov_b64 s[8:9], 0
                                        ; implicit-def: $vgpr1
	s_and_saveexec_b64 s[10:11], vcc
	s_xor_b64 s[10:11], exec, s[10:11]
	s_cbranch_execz .LBB21_268
; %bb.167:
	v_bfe_u32 v1, v0, 20, 1
	s_mov_b32 s14, 0x487ffff
	v_add3_u32 v1, v0, v1, s14
	s_mov_b64 s[8:9], exec
	v_lshrrev_b32_e32 v1, 20, v1
	s_andn2_saveexec_b64 s[10:11], s[10:11]
	s_cbranch_execnz .LBB21_269
.LBB21_168:
	s_or_b64 exec, exec, s[10:11]
	v_mov_b32_e32 v4, 0
	s_and_saveexec_b64 s[10:11], s[8:9]
.LBB21_169:
	v_lshrrev_b32_e32 v4, 24, v0
	s_movk_i32 s8, 0x80
	v_and_or_b32 v4, v4, s8, v1
.LBB21_170:
	s_or_b64 exec, exec, s[10:11]
.LBB21_171:
	s_or_b64 exec, exec, s[6:7]
	global_store_byte v[2:3], v4, off
.LBB21_172:
	s_mov_b64 s[6:7], -1
.LBB21_173:
	s_mov_b64 s[8:9], 0
.LBB21_174:
	s_and_b64 vcc, exec, s[8:9]
	s_cbranch_vccz .LBB21_215
; %bb.175:
	s_cmp_gt_i32 s13, 22
	s_mov_b64 s[8:9], -1
	s_cbranch_scc0 .LBB21_207
; %bb.176:
	s_cmp_lt_i32 s13, 24
	s_mov_b64 s[6:7], -1
	s_cbranch_scc1 .LBB21_196
; %bb.177:
	s_cmp_gt_i32 s13, 24
	s_cbranch_scc0 .LBB21_185
; %bb.178:
	v_and_b32_e32 v1, 0x7fffffff, v0
	s_mov_b32 s6, 0x47800000
	v_cmp_gt_u32_e32 vcc, s6, v1
	v_mov_b32_e32 v4, 0x80
	s_and_saveexec_b64 s[6:7], vcc
	s_cbranch_execz .LBB21_184
; %bb.179:
	s_mov_b32 s8, 0x37ffffff
	v_cmp_lt_u32_e32 vcc, s8, v1
	s_mov_b64 s[8:9], 0
                                        ; implicit-def: $vgpr1
	s_and_saveexec_b64 s[10:11], vcc
	s_xor_b64 s[10:11], exec, s[10:11]
	s_cbranch_execz .LBB21_271
; %bb.180:
	v_bfe_u32 v1, v0, 21, 1
	s_mov_b32 s14, 0x88fffff
	v_add3_u32 v1, v0, v1, s14
	s_mov_b64 s[8:9], exec
	v_lshrrev_b32_e32 v1, 21, v1
	s_andn2_saveexec_b64 s[10:11], s[10:11]
	s_cbranch_execnz .LBB21_272
.LBB21_181:
	s_or_b64 exec, exec, s[10:11]
	v_mov_b32_e32 v4, 0
	s_and_saveexec_b64 s[10:11], s[8:9]
.LBB21_182:
	v_lshrrev_b32_e32 v4, 24, v0
	s_movk_i32 s8, 0x80
	v_and_or_b32 v4, v4, s8, v1
.LBB21_183:
	s_or_b64 exec, exec, s[10:11]
.LBB21_184:
	s_or_b64 exec, exec, s[6:7]
	s_mov_b64 s[6:7], 0
	global_store_byte v[2:3], v4, off
.LBB21_185:
	s_and_b64 vcc, exec, s[6:7]
	s_cbranch_vccz .LBB21_195
; %bb.186:
	v_and_b32_e32 v4, 0x7fffffff, v0
	s_mov_b32 s6, 0x43f00000
	v_cmp_gt_u32_e32 vcc, s6, v4
                                        ; implicit-def: $vgpr1
	s_and_saveexec_b64 s[6:7], vcc
	s_xor_b64 s[6:7], exec, s[6:7]
	s_cbranch_execz .LBB21_192
; %bb.187:
	s_mov_b32 s8, 0x3c7fffff
	v_cmp_lt_u32_e32 vcc, s8, v4
                                        ; implicit-def: $vgpr1
	s_and_saveexec_b64 s[8:9], vcc
	s_xor_b64 s[8:9], exec, s[8:9]
; %bb.188:
	v_bfe_u32 v1, v0, 20, 1
	s_mov_b32 s10, 0x407ffff
	v_add3_u32 v1, v0, v1, s10
	v_lshrrev_b32_e32 v4, 20, v1
	v_and_b32_e32 v1, 0xff00000, v1
	s_mov_b32 s10, 0x7f00000
	v_mov_b32_e32 v5, 0x7e
	v_cmp_ne_u32_e32 vcc, s10, v1
	v_cndmask_b32_e32 v1, v5, v4, vcc
; %bb.189:
	s_andn2_saveexec_b64 s[8:9], s[8:9]
; %bb.190:
	s_mov_b32 s10, 0x46800000
	v_add_f32_e64 v1, |v0|, s10
; %bb.191:
	s_or_b64 exec, exec, s[8:9]
                                        ; implicit-def: $vgpr4
.LBB21_192:
	s_andn2_saveexec_b64 s[6:7], s[6:7]
; %bb.193:
	s_mov_b32 s8, 0x7f800000
	v_mov_b32_e32 v1, 0x7e
	v_mov_b32_e32 v5, 0x7f
	v_cmp_lt_u32_e32 vcc, s8, v4
	v_cndmask_b32_e32 v1, v1, v5, vcc
; %bb.194:
	s_or_b64 exec, exec, s[6:7]
	v_lshrrev_b32_e32 v4, 24, v0
	s_movk_i32 s6, 0x80
	v_and_or_b32 v1, v4, s6, v1
	global_store_byte v[2:3], v1, off
.LBB21_195:
	s_mov_b64 s[6:7], 0
.LBB21_196:
	s_andn2_b64 vcc, exec, s[6:7]
	s_cbranch_vccnz .LBB21_206
; %bb.197:
	v_and_b32_e32 v4, 0x7fffffff, v0
	s_mov_b32 s6, 0x47800000
	v_cmp_gt_u32_e32 vcc, s6, v4
                                        ; implicit-def: $vgpr1
	s_and_saveexec_b64 s[6:7], vcc
	s_xor_b64 s[6:7], exec, s[6:7]
	s_cbranch_execz .LBB21_203
; %bb.198:
	s_mov_b32 s8, 0x387fffff
	v_cmp_lt_u32_e32 vcc, s8, v4
                                        ; implicit-def: $vgpr1
	s_and_saveexec_b64 s[8:9], vcc
	s_xor_b64 s[8:9], exec, s[8:9]
; %bb.199:
	v_bfe_u32 v1, v0, 21, 1
	s_mov_b32 s10, 0x80fffff
	v_add3_u32 v1, v0, v1, s10
	v_lshrrev_b32_e32 v1, 21, v1
; %bb.200:
	s_andn2_saveexec_b64 s[8:9], s[8:9]
; %bb.201:
	s_mov_b32 s10, 0x43000000
	v_add_f32_e64 v1, |v0|, s10
; %bb.202:
	s_or_b64 exec, exec, s[8:9]
                                        ; implicit-def: $vgpr4
.LBB21_203:
	s_andn2_saveexec_b64 s[6:7], s[6:7]
; %bb.204:
	s_mov_b32 s8, 0x7f800000
	v_mov_b32_e32 v1, 0x7c
	v_mov_b32_e32 v5, 0x7f
	v_cmp_lt_u32_e32 vcc, s8, v4
	v_cndmask_b32_e32 v1, v1, v5, vcc
; %bb.205:
	s_or_b64 exec, exec, s[6:7]
	v_lshrrev_b32_e32 v4, 24, v0
	s_movk_i32 s6, 0x80
	v_and_or_b32 v1, v4, s6, v1
	global_store_byte v[2:3], v1, off
.LBB21_206:
	s_mov_b64 s[8:9], 0
	s_mov_b64 s[6:7], -1
.LBB21_207:
	s_andn2_b64 vcc, exec, s[8:9]
	s_cbranch_vccnz .LBB21_215
; %bb.208:
	s_cmp_gt_i32 s13, 14
	s_mov_b64 s[8:9], -1
	s_cbranch_scc0 .LBB21_212
; %bb.209:
	s_cmp_eq_u32 s13, 15
	s_mov_b64 s[4:5], -1
	s_cbranch_scc0 .LBB21_211
; %bb.210:
	v_bfe_u32 v1, v0, 16, 1
	s_movk_i32 s4, 0x7fff
	v_add3_u32 v1, v0, v1, s4
	v_cmp_o_f32_e32 vcc, v0, v0
	v_mov_b32_e32 v4, 0x7fc0
	v_cndmask_b32_sdwa v1, v4, v1, vcc dst_sel:DWORD dst_unused:UNUSED_PAD src0_sel:DWORD src1_sel:WORD_1
	global_store_short v[2:3], v1, off
	s_mov_b64 s[6:7], -1
	s_mov_b64 s[4:5], 0
.LBB21_211:
	s_mov_b64 s[8:9], 0
.LBB21_212:
	s_and_b64 vcc, exec, s[8:9]
	s_cbranch_vccz .LBB21_215
; %bb.213:
	s_cmp_eq_u32 s13, 11
	s_mov_b64 s[4:5], -1
	s_cbranch_scc0 .LBB21_215
; %bb.214:
	v_cmp_neq_f32_e32 vcc, 0, v0
	v_cndmask_b32_e64 v1, 0, 1, vcc
	s_mov_b64 s[6:7], -1
	s_mov_b64 s[4:5], 0
	global_store_byte v[2:3], v1, off
.LBB21_215:
	s_branch .LBB21_137
.LBB21_216:
	s_and_b32 s8, 0xffff, s12
	s_cmp_lt_i32 s8, 5
	s_mov_b64 s[6:7], -1
	s_cbranch_scc1 .LBB21_237
; %bb.217:
	s_cmp_lt_i32 s8, 8
	s_cbranch_scc1 .LBB21_227
; %bb.218:
	s_cmp_lt_i32 s8, 9
	s_cbranch_scc1 .LBB21_224
; %bb.219:
	s_cmp_gt_i32 s8, 9
	s_cbranch_scc0 .LBB21_221
; %bb.220:
	v_cvt_f64_f32_e32 v[4:5], v0
	v_mov_b32_e32 v6, 0
	v_mov_b32_e32 v7, v6
	s_mov_b64 s[6:7], 0
	global_store_dwordx4 v[2:3], v[4:7], off
.LBB21_221:
	s_andn2_b64 vcc, exec, s[6:7]
	s_cbranch_vccnz .LBB21_223
; %bb.222:
	v_mov_b32_e32 v1, 0
	global_store_dwordx2 v[2:3], v[0:1], off
.LBB21_223:
	s_mov_b64 s[6:7], 0
.LBB21_224:
	s_andn2_b64 vcc, exec, s[6:7]
	s_cbranch_vccnz .LBB21_226
; %bb.225:
	v_cvt_f16_f32_e32 v1, v0
	global_store_dword v[2:3], v1, off
.LBB21_226:
	s_mov_b64 s[6:7], 0
.LBB21_227:
	s_andn2_b64 vcc, exec, s[6:7]
	s_cbranch_vccnz .LBB21_236
; %bb.228:
	s_cmp_lt_i32 s8, 6
	s_mov_b64 s[6:7], -1
	s_cbranch_scc1 .LBB21_234
; %bb.229:
	s_cmp_gt_i32 s8, 6
	s_cbranch_scc0 .LBB21_231
; %bb.230:
	v_cvt_f64_f32_e32 v[4:5], v0
	s_mov_b64 s[6:7], 0
	global_store_dwordx2 v[2:3], v[4:5], off
.LBB21_231:
	s_andn2_b64 vcc, exec, s[6:7]
	s_cbranch_vccnz .LBB21_233
; %bb.232:
	global_store_dword v[2:3], v0, off
.LBB21_233:
	s_mov_b64 s[6:7], 0
.LBB21_234:
	s_andn2_b64 vcc, exec, s[6:7]
	s_cbranch_vccnz .LBB21_236
; %bb.235:
	v_cvt_f16_f32_e32 v1, v0
	global_store_short v[2:3], v1, off
.LBB21_236:
	s_mov_b64 s[6:7], 0
.LBB21_237:
	s_andn2_b64 vcc, exec, s[6:7]
	s_cbranch_vccnz .LBB21_253
; %bb.238:
	s_cmp_lt_i32 s8, 2
	s_mov_b64 s[6:7], -1
	s_cbranch_scc1 .LBB21_248
; %bb.239:
	s_cmp_lt_i32 s8, 3
	s_cbranch_scc1 .LBB21_245
; %bb.240:
	s_cmp_gt_i32 s8, 3
	s_cbranch_scc0 .LBB21_242
; %bb.241:
	v_trunc_f32_e32 v1, v0
	s_mov_b32 s6, 0x2f800000
	v_mul_f32_e64 v4, |v1|, s6
	v_floor_f32_e32 v4, v4
	s_mov_b32 s6, 0xcf800000
	v_cvt_u32_f32_e32 v5, v4
	v_fma_f32 v4, v4, s6, |v1|
	v_cvt_u32_f32_e32 v4, v4
	v_ashrrev_i32_e32 v1, 31, v1
	v_xor_b32_e32 v5, v5, v1
	s_mov_b64 s[6:7], 0
	v_xor_b32_e32 v4, v4, v1
	v_sub_co_u32_e32 v4, vcc, v4, v1
	v_subb_co_u32_e32 v5, vcc, v5, v1, vcc
	global_store_dwordx2 v[2:3], v[4:5], off
.LBB21_242:
	s_andn2_b64 vcc, exec, s[6:7]
	s_cbranch_vccnz .LBB21_244
; %bb.243:
	v_cvt_i32_f32_e32 v1, v0
	global_store_dword v[2:3], v1, off
.LBB21_244:
	s_mov_b64 s[6:7], 0
.LBB21_245:
	s_andn2_b64 vcc, exec, s[6:7]
	s_cbranch_vccnz .LBB21_247
; %bb.246:
	v_cvt_i32_f32_e32 v1, v0
	global_store_short v[2:3], v1, off
.LBB21_247:
	s_mov_b64 s[6:7], 0
.LBB21_248:
	s_andn2_b64 vcc, exec, s[6:7]
	s_cbranch_vccnz .LBB21_253
; %bb.249:
	s_cmp_gt_i32 s8, 0
	s_mov_b64 s[6:7], -1
	s_cbranch_scc0 .LBB21_251
; %bb.250:
	v_cvt_i32_f32_e32 v1, v0
	s_mov_b64 s[6:7], 0
	global_store_byte v[2:3], v1, off
.LBB21_251:
	s_andn2_b64 vcc, exec, s[6:7]
	s_cbranch_vccnz .LBB21_253
; %bb.252:
	v_trunc_f32_e32 v0, v0
	s_mov_b32 s6, 0x2f800000
	v_mul_f32_e64 v1, |v0|, s6
	v_floor_f32_e32 v1, v1
	s_mov_b32 s6, 0xcf800000
	v_fma_f32 v1, v1, s6, |v0|
	v_cvt_u32_f32_e32 v1, v1
	v_ashrrev_i32_e32 v0, 31, v0
	v_xor_b32_e32 v1, v1, v0
	v_sub_u32_e32 v0, v1, v0
	global_store_byte v[2:3], v0, off
.LBB21_253:
	s_branch .LBB21_138
.LBB21_254:
	s_mov_b64 s[6:7], 0
                                        ; implicit-def: $vgpr23
.LBB21_255:
	s_andn2_b64 s[8:9], s[42:43], exec
	s_and_b64 s[4:5], s[4:5], exec
	s_or_b64 s[46:47], s[8:9], s[4:5]
	s_orn2_b64 s[8:9], s[6:7], exec
.LBB21_256:
	s_or_b64 exec, exec, s[48:49]
	s_mov_b64 s[4:5], 0
	s_mov_b64 s[6:7], 0
                                        ; implicit-def: $sgpr14
                                        ; implicit-def: $vgpr2_vgpr3
                                        ; implicit-def: $vgpr0
	s_and_saveexec_b64 s[48:49], s[8:9]
	s_cbranch_execz .LBB21_467
; %bb.257:
	v_cmp_gt_i32_e32 vcc, s54, v23
	s_mov_b64 s[6:7], -1
	s_mov_b64 s[52:53], s[46:47]
	s_and_saveexec_b64 s[50:51], vcc
	s_cbranch_execz .LBB21_386
; %bb.258:
	s_getpc_b64 s[4:5]
	s_add_u32 s4, s4, _ZN2at6native6invokeIZZZNS0_12_GLOBAL__N_121bessel_y0_kernel_cudaERNS_18TensorIteratorBaseEENKUlvE_clEvENKUlvE0_clEvEUlfE_i15function_traitsIS7_EEENT1_11result_typeERKT_PrKPcPKT0_PKN3c1010ScalarTypeEi@rel32@lo+4
	s_addc_u32 s5, s5, _ZN2at6native6invokeIZZZNS0_12_GLOBAL__N_121bessel_y0_kernel_cudaERNS_18TensorIteratorBaseEENKUlvE_clEvENKUlvE0_clEvEUlfE_i15function_traitsIS7_EEENT1_11result_typeERKT_PrKPcPKT0_PKN3c1010ScalarTypeEi@rel32@hi+12
	v_mov_b32_e32 v0, s38
	v_mov_b32_e32 v1, s39
	;; [unrolled: 1-line block ×5, first 2 shown]
	s_swappc_b64 s[30:31], s[4:5]
	v_mul_lo_u32 v1, v23, s28
	v_mov_b32_e32 v3, s37
	s_and_b32 s12, s33, 0xff
	s_cmp_lt_i32 s12, 11
	v_ashrrev_i32_e32 v4, 31, v1
	v_add_co_u32_e32 v2, vcc, s36, v1
	v_addc_co_u32_e32 v3, vcc, v3, v4, vcc
	s_cbranch_scc1 .LBB21_265
; %bb.259:
	s_and_b32 s13, 0xffff, s12
	s_cmp_gt_i32 s13, 25
	s_cbranch_scc0 .LBB21_266
; %bb.260:
	s_cmp_gt_i32 s13, 28
	s_cbranch_scc0 .LBB21_267
; %bb.261:
	;; [unrolled: 3-line block ×4, first 2 shown]
	s_mov_b64 s[8:9], 0
	s_mov_b64 s[4:5], -1
	s_cmp_eq_u32 s13, 46
	s_mov_b64 s[6:7], 0
	s_cbranch_scc0 .LBB21_274
; %bb.264:
	v_bfe_u32 v1, v0, 16, 1
	s_movk_i32 s4, 0x7fff
	v_add3_u32 v1, v0, v1, s4
	v_cmp_o_f32_e32 vcc, v0, v0
	v_mov_b32_e32 v4, 0x7fc0
	v_cndmask_b32_sdwa v1, v4, v1, vcc dst_sel:DWORD dst_unused:UNUSED_PAD src0_sel:DWORD src1_sel:WORD_1
	global_store_dword v[2:3], v1, off
	s_mov_b64 s[6:7], -1
	s_mov_b64 s[4:5], 0
	s_branch .LBB21_274
.LBB21_265:
	s_mov_b64 s[8:9], -1
	s_mov_b64 s[6:7], 0
	s_mov_b64 s[4:5], s[46:47]
	s_branch .LBB21_343
.LBB21_266:
	s_mov_b64 s[8:9], -1
	s_mov_b64 s[6:7], 0
	s_mov_b64 s[4:5], s[46:47]
	s_branch .LBB21_301
.LBB21_267:
	s_mov_b64 s[8:9], -1
	s_mov_b64 s[6:7], 0
	s_mov_b64 s[4:5], s[46:47]
	s_branch .LBB21_284
.LBB21_268:
	s_andn2_saveexec_b64 s[10:11], s[10:11]
	s_cbranch_execz .LBB21_168
.LBB21_269:
	s_mov_b32 s14, 0x46000000
	v_add_f32_e64 v1, |v0|, s14
	v_and_b32_e32 v1, 0xff, v1
	v_cmp_ne_u32_e32 vcc, 0, v1
	s_andn2_b64 s[8:9], s[8:9], exec
	s_and_b64 s[14:15], vcc, exec
	s_or_b64 s[8:9], s[8:9], s[14:15]
	s_or_b64 exec, exec, s[10:11]
	v_mov_b32_e32 v4, 0
	s_and_saveexec_b64 s[10:11], s[8:9]
	s_cbranch_execnz .LBB21_169
	s_branch .LBB21_170
.LBB21_270:
	s_mov_b64 s[8:9], -1
	s_mov_b64 s[6:7], 0
	s_mov_b64 s[4:5], s[46:47]
	s_branch .LBB21_280
.LBB21_271:
	s_andn2_saveexec_b64 s[10:11], s[10:11]
	s_cbranch_execz .LBB21_181
.LBB21_272:
	s_mov_b32 s14, 0x42800000
	v_add_f32_e64 v1, |v0|, s14
	v_and_b32_e32 v1, 0xff, v1
	v_cmp_ne_u32_e32 vcc, 0, v1
	s_andn2_b64 s[8:9], s[8:9], exec
	s_and_b64 s[14:15], vcc, exec
	s_or_b64 s[8:9], s[8:9], s[14:15]
	s_or_b64 exec, exec, s[10:11]
	v_mov_b32_e32 v4, 0
	s_and_saveexec_b64 s[10:11], s[8:9]
	s_cbranch_execnz .LBB21_182
	s_branch .LBB21_183
.LBB21_273:
	s_mov_b64 s[8:9], -1
	s_mov_b64 s[6:7], 0
	s_mov_b64 s[4:5], s[46:47]
.LBB21_274:
	s_and_b64 vcc, exec, s[8:9]
	s_cbranch_vccz .LBB21_279
; %bb.275:
	s_cmp_eq_u32 s13, 44
	s_mov_b64 s[4:5], -1
	s_cbranch_scc0 .LBB21_279
; %bb.276:
	v_bfe_u32 v1, v0, 23, 8
	s_movk_i32 s4, 0xff
	v_cmp_ne_u32_e32 vcc, s4, v1
	v_mov_b32_e32 v4, 0xff
	s_and_saveexec_b64 s[6:7], vcc
; %bb.277:
	s_mov_b32 s4, 0x3fffff
	v_and_b32_e32 v5, 0x400000, v0
	v_and_or_b32 v1, v0, s4, v1
	v_cmp_ne_u32_e32 vcc, 0, v5
	v_cmp_ne_u32_e64 s[4:5], 0, v1
	s_and_b64 s[4:5], vcc, s[4:5]
	v_lshrrev_b32_e32 v4, 23, v0
	v_cndmask_b32_e64 v1, 0, 1, s[4:5]
	v_add_u32_e32 v4, v4, v1
; %bb.278:
	s_or_b64 exec, exec, s[6:7]
	s_mov_b64 s[6:7], -1
	s_mov_b64 s[4:5], 0
	global_store_byte v[2:3], v4, off
.LBB21_279:
	s_mov_b64 s[8:9], 0
.LBB21_280:
	s_and_b64 vcc, exec, s[8:9]
	s_cbranch_vccz .LBB21_283
; %bb.281:
	s_cmp_eq_u32 s13, 29
	s_mov_b64 s[4:5], -1
	s_cbranch_scc0 .LBB21_283
; %bb.282:
	v_trunc_f32_e32 v1, v0
	v_mul_f32_e32 v4, 0x2f800000, v1
	v_floor_f32_e32 v4, v4
	v_fmac_f32_e32 v1, 0xcf800000, v4
	v_cvt_u32_f32_e32 v5, v4
	v_cvt_u32_f32_e32 v4, v1
	s_mov_b64 s[6:7], -1
	s_mov_b64 s[4:5], 0
	s_mov_b64 s[8:9], 0
	global_store_dwordx2 v[2:3], v[4:5], off
	s_branch .LBB21_284
.LBB21_283:
	s_mov_b64 s[8:9], 0
.LBB21_284:
	s_and_b64 vcc, exec, s[8:9]
	s_cbranch_vccz .LBB21_300
; %bb.285:
	s_cmp_lt_i32 s13, 27
	s_mov_b64 s[6:7], -1
	s_cbranch_scc1 .LBB21_291
; %bb.286:
	v_cvt_u32_f32_e32 v1, v0
	s_cmp_gt_i32 s13, 27
	s_cbranch_scc0 .LBB21_288
; %bb.287:
	s_mov_b64 s[6:7], 0
	global_store_dword v[2:3], v1, off
.LBB21_288:
	s_andn2_b64 vcc, exec, s[6:7]
	s_cbranch_vccnz .LBB21_290
; %bb.289:
	global_store_short v[2:3], v1, off
.LBB21_290:
	s_mov_b64 s[6:7], 0
.LBB21_291:
	s_andn2_b64 vcc, exec, s[6:7]
	s_cbranch_vccnz .LBB21_299
; %bb.292:
	v_and_b32_e32 v1, 0x7fffffff, v0
	s_mov_b32 s6, 0x43800000
	v_cmp_gt_u32_e32 vcc, s6, v1
	v_mov_b32_e32 v4, 0x80
	s_and_saveexec_b64 s[6:7], vcc
	s_cbranch_execz .LBB21_298
; %bb.293:
	s_mov_b32 s8, 0x3bffffff
	v_cmp_lt_u32_e32 vcc, s8, v1
	s_mov_b64 s[8:9], 0
                                        ; implicit-def: $vgpr1
	s_and_saveexec_b64 s[10:11], vcc
	s_xor_b64 s[10:11], exec, s[10:11]
	s_cbranch_execz .LBB21_998
; %bb.294:
	v_bfe_u32 v1, v0, 20, 1
	s_mov_b32 s14, 0x487ffff
	v_add3_u32 v1, v0, v1, s14
	s_mov_b64 s[8:9], exec
	v_lshrrev_b32_e32 v1, 20, v1
	s_andn2_saveexec_b64 s[10:11], s[10:11]
	s_cbranch_execnz .LBB21_999
.LBB21_295:
	s_or_b64 exec, exec, s[10:11]
	v_mov_b32_e32 v4, 0
	s_and_saveexec_b64 s[10:11], s[8:9]
.LBB21_296:
	v_lshrrev_b32_e32 v4, 24, v0
	s_movk_i32 s8, 0x80
	v_and_or_b32 v4, v4, s8, v1
.LBB21_297:
	s_or_b64 exec, exec, s[10:11]
.LBB21_298:
	s_or_b64 exec, exec, s[6:7]
	global_store_byte v[2:3], v4, off
.LBB21_299:
	s_mov_b64 s[6:7], -1
.LBB21_300:
	s_mov_b64 s[8:9], 0
.LBB21_301:
	s_and_b64 vcc, exec, s[8:9]
	s_cbranch_vccz .LBB21_342
; %bb.302:
	s_cmp_gt_i32 s13, 22
	s_mov_b64 s[8:9], -1
	s_cbranch_scc0 .LBB21_334
; %bb.303:
	s_cmp_lt_i32 s13, 24
	s_mov_b64 s[6:7], -1
	s_cbranch_scc1 .LBB21_323
; %bb.304:
	s_cmp_gt_i32 s13, 24
	s_cbranch_scc0 .LBB21_312
; %bb.305:
	v_and_b32_e32 v1, 0x7fffffff, v0
	s_mov_b32 s6, 0x47800000
	v_cmp_gt_u32_e32 vcc, s6, v1
	v_mov_b32_e32 v4, 0x80
	s_and_saveexec_b64 s[6:7], vcc
	s_cbranch_execz .LBB21_311
; %bb.306:
	s_mov_b32 s8, 0x37ffffff
	v_cmp_lt_u32_e32 vcc, s8, v1
	s_mov_b64 s[8:9], 0
                                        ; implicit-def: $vgpr1
	s_and_saveexec_b64 s[10:11], vcc
	s_xor_b64 s[10:11], exec, s[10:11]
	s_cbranch_execz .LBB21_1005
; %bb.307:
	v_bfe_u32 v1, v0, 21, 1
	s_mov_b32 s14, 0x88fffff
	v_add3_u32 v1, v0, v1, s14
	s_mov_b64 s[8:9], exec
	v_lshrrev_b32_e32 v1, 21, v1
	s_andn2_saveexec_b64 s[10:11], s[10:11]
	s_cbranch_execnz .LBB21_1006
.LBB21_308:
	s_or_b64 exec, exec, s[10:11]
	v_mov_b32_e32 v4, 0
	s_and_saveexec_b64 s[10:11], s[8:9]
.LBB21_309:
	v_lshrrev_b32_e32 v4, 24, v0
	s_movk_i32 s8, 0x80
	v_and_or_b32 v4, v4, s8, v1
.LBB21_310:
	s_or_b64 exec, exec, s[10:11]
.LBB21_311:
	s_or_b64 exec, exec, s[6:7]
	s_mov_b64 s[6:7], 0
	global_store_byte v[2:3], v4, off
.LBB21_312:
	s_and_b64 vcc, exec, s[6:7]
	s_cbranch_vccz .LBB21_322
; %bb.313:
	v_and_b32_e32 v4, 0x7fffffff, v0
	s_mov_b32 s6, 0x43f00000
	v_cmp_gt_u32_e32 vcc, s6, v4
                                        ; implicit-def: $vgpr1
	s_and_saveexec_b64 s[6:7], vcc
	s_xor_b64 s[6:7], exec, s[6:7]
	s_cbranch_execz .LBB21_319
; %bb.314:
	s_mov_b32 s8, 0x3c7fffff
	v_cmp_lt_u32_e32 vcc, s8, v4
                                        ; implicit-def: $vgpr1
	s_and_saveexec_b64 s[8:9], vcc
	s_xor_b64 s[8:9], exec, s[8:9]
; %bb.315:
	v_bfe_u32 v1, v0, 20, 1
	s_mov_b32 s10, 0x407ffff
	v_add3_u32 v1, v0, v1, s10
	v_lshrrev_b32_e32 v4, 20, v1
	v_and_b32_e32 v1, 0xff00000, v1
	s_mov_b32 s10, 0x7f00000
	v_mov_b32_e32 v5, 0x7e
	v_cmp_ne_u32_e32 vcc, s10, v1
	v_cndmask_b32_e32 v1, v5, v4, vcc
; %bb.316:
	s_andn2_saveexec_b64 s[8:9], s[8:9]
; %bb.317:
	s_mov_b32 s10, 0x46800000
	v_add_f32_e64 v1, |v0|, s10
; %bb.318:
	s_or_b64 exec, exec, s[8:9]
                                        ; implicit-def: $vgpr4
.LBB21_319:
	s_andn2_saveexec_b64 s[6:7], s[6:7]
; %bb.320:
	s_mov_b32 s8, 0x7f800000
	v_mov_b32_e32 v1, 0x7e
	v_mov_b32_e32 v5, 0x7f
	v_cmp_lt_u32_e32 vcc, s8, v4
	v_cndmask_b32_e32 v1, v1, v5, vcc
; %bb.321:
	s_or_b64 exec, exec, s[6:7]
	v_lshrrev_b32_e32 v4, 24, v0
	s_movk_i32 s6, 0x80
	v_and_or_b32 v1, v4, s6, v1
	global_store_byte v[2:3], v1, off
.LBB21_322:
	s_mov_b64 s[6:7], 0
.LBB21_323:
	s_andn2_b64 vcc, exec, s[6:7]
	s_cbranch_vccnz .LBB21_333
; %bb.324:
	v_and_b32_e32 v4, 0x7fffffff, v0
	s_mov_b32 s6, 0x47800000
	v_cmp_gt_u32_e32 vcc, s6, v4
                                        ; implicit-def: $vgpr1
	s_and_saveexec_b64 s[6:7], vcc
	s_xor_b64 s[6:7], exec, s[6:7]
	s_cbranch_execz .LBB21_330
; %bb.325:
	s_mov_b32 s8, 0x387fffff
	v_cmp_lt_u32_e32 vcc, s8, v4
                                        ; implicit-def: $vgpr1
	s_and_saveexec_b64 s[8:9], vcc
	s_xor_b64 s[8:9], exec, s[8:9]
; %bb.326:
	v_bfe_u32 v1, v0, 21, 1
	s_mov_b32 s10, 0x80fffff
	v_add3_u32 v1, v0, v1, s10
	v_lshrrev_b32_e32 v1, 21, v1
; %bb.327:
	s_andn2_saveexec_b64 s[8:9], s[8:9]
; %bb.328:
	s_mov_b32 s10, 0x43000000
	v_add_f32_e64 v1, |v0|, s10
; %bb.329:
	s_or_b64 exec, exec, s[8:9]
                                        ; implicit-def: $vgpr4
.LBB21_330:
	s_andn2_saveexec_b64 s[6:7], s[6:7]
; %bb.331:
	s_mov_b32 s8, 0x7f800000
	v_mov_b32_e32 v1, 0x7c
	v_mov_b32_e32 v5, 0x7f
	v_cmp_lt_u32_e32 vcc, s8, v4
	v_cndmask_b32_e32 v1, v1, v5, vcc
; %bb.332:
	s_or_b64 exec, exec, s[6:7]
	v_lshrrev_b32_e32 v4, 24, v0
	s_movk_i32 s6, 0x80
	v_and_or_b32 v1, v4, s6, v1
	global_store_byte v[2:3], v1, off
.LBB21_333:
	s_mov_b64 s[8:9], 0
	s_mov_b64 s[6:7], -1
.LBB21_334:
	s_andn2_b64 vcc, exec, s[8:9]
	s_cbranch_vccnz .LBB21_342
; %bb.335:
	s_cmp_gt_i32 s13, 14
	s_mov_b64 s[8:9], -1
	s_cbranch_scc0 .LBB21_339
; %bb.336:
	s_cmp_eq_u32 s13, 15
	s_mov_b64 s[4:5], -1
	s_cbranch_scc0 .LBB21_338
; %bb.337:
	v_bfe_u32 v1, v0, 16, 1
	s_movk_i32 s4, 0x7fff
	v_add3_u32 v1, v0, v1, s4
	v_cmp_o_f32_e32 vcc, v0, v0
	v_mov_b32_e32 v4, 0x7fc0
	v_cndmask_b32_sdwa v1, v4, v1, vcc dst_sel:DWORD dst_unused:UNUSED_PAD src0_sel:DWORD src1_sel:WORD_1
	global_store_short v[2:3], v1, off
	s_mov_b64 s[6:7], -1
	s_mov_b64 s[4:5], 0
.LBB21_338:
	s_mov_b64 s[8:9], 0
.LBB21_339:
	s_and_b64 vcc, exec, s[8:9]
	s_cbranch_vccz .LBB21_342
; %bb.340:
	s_cmp_eq_u32 s13, 11
	s_mov_b64 s[4:5], -1
	s_cbranch_scc0 .LBB21_342
; %bb.341:
	v_cmp_neq_f32_e32 vcc, 0, v0
	v_cndmask_b32_e64 v1, 0, 1, vcc
	s_mov_b64 s[6:7], -1
	s_mov_b64 s[4:5], 0
	global_store_byte v[2:3], v1, off
.LBB21_342:
	s_mov_b64 s[8:9], 0
.LBB21_343:
	s_and_b64 vcc, exec, s[8:9]
	s_cbranch_vccz .LBB21_382
; %bb.344:
	s_and_b32 s8, 0xffff, s12
	s_cmp_lt_i32 s8, 5
	s_mov_b64 s[6:7], -1
	s_cbranch_scc1 .LBB21_365
; %bb.345:
	s_cmp_lt_i32 s8, 8
	s_cbranch_scc1 .LBB21_355
; %bb.346:
	s_cmp_lt_i32 s8, 9
	s_cbranch_scc1 .LBB21_352
; %bb.347:
	s_cmp_gt_i32 s8, 9
	s_cbranch_scc0 .LBB21_349
; %bb.348:
	v_cvt_f64_f32_e32 v[4:5], v0
	v_mov_b32_e32 v6, 0
	v_mov_b32_e32 v7, v6
	s_mov_b64 s[6:7], 0
	global_store_dwordx4 v[2:3], v[4:7], off
.LBB21_349:
	s_andn2_b64 vcc, exec, s[6:7]
	s_cbranch_vccnz .LBB21_351
; %bb.350:
	v_mov_b32_e32 v1, 0
	global_store_dwordx2 v[2:3], v[0:1], off
.LBB21_351:
	s_mov_b64 s[6:7], 0
.LBB21_352:
	s_andn2_b64 vcc, exec, s[6:7]
	s_cbranch_vccnz .LBB21_354
; %bb.353:
	v_cvt_f16_f32_e32 v1, v0
	global_store_dword v[2:3], v1, off
.LBB21_354:
	s_mov_b64 s[6:7], 0
.LBB21_355:
	s_andn2_b64 vcc, exec, s[6:7]
	s_cbranch_vccnz .LBB21_364
; %bb.356:
	s_cmp_lt_i32 s8, 6
	s_mov_b64 s[6:7], -1
	s_cbranch_scc1 .LBB21_362
; %bb.357:
	s_cmp_gt_i32 s8, 6
	s_cbranch_scc0 .LBB21_359
; %bb.358:
	v_cvt_f64_f32_e32 v[4:5], v0
	s_mov_b64 s[6:7], 0
	global_store_dwordx2 v[2:3], v[4:5], off
.LBB21_359:
	s_andn2_b64 vcc, exec, s[6:7]
	s_cbranch_vccnz .LBB21_361
; %bb.360:
	global_store_dword v[2:3], v0, off
.LBB21_361:
	s_mov_b64 s[6:7], 0
.LBB21_362:
	s_andn2_b64 vcc, exec, s[6:7]
	s_cbranch_vccnz .LBB21_364
; %bb.363:
	v_cvt_f16_f32_e32 v1, v0
	global_store_short v[2:3], v1, off
.LBB21_364:
	s_mov_b64 s[6:7], 0
.LBB21_365:
	s_andn2_b64 vcc, exec, s[6:7]
	s_cbranch_vccnz .LBB21_381
; %bb.366:
	s_cmp_lt_i32 s8, 2
	s_mov_b64 s[6:7], -1
	s_cbranch_scc1 .LBB21_376
; %bb.367:
	s_cmp_lt_i32 s8, 3
	s_cbranch_scc1 .LBB21_373
; %bb.368:
	s_cmp_gt_i32 s8, 3
	s_cbranch_scc0 .LBB21_370
; %bb.369:
	v_trunc_f32_e32 v1, v0
	s_mov_b32 s6, 0x2f800000
	v_mul_f32_e64 v4, |v1|, s6
	v_floor_f32_e32 v4, v4
	s_mov_b32 s6, 0xcf800000
	v_cvt_u32_f32_e32 v5, v4
	v_fma_f32 v4, v4, s6, |v1|
	v_cvt_u32_f32_e32 v4, v4
	v_ashrrev_i32_e32 v1, 31, v1
	v_xor_b32_e32 v5, v5, v1
	s_mov_b64 s[6:7], 0
	v_xor_b32_e32 v4, v4, v1
	v_sub_co_u32_e32 v4, vcc, v4, v1
	v_subb_co_u32_e32 v5, vcc, v5, v1, vcc
	global_store_dwordx2 v[2:3], v[4:5], off
.LBB21_370:
	s_andn2_b64 vcc, exec, s[6:7]
	s_cbranch_vccnz .LBB21_372
; %bb.371:
	v_cvt_i32_f32_e32 v1, v0
	global_store_dword v[2:3], v1, off
.LBB21_372:
	s_mov_b64 s[6:7], 0
.LBB21_373:
	s_andn2_b64 vcc, exec, s[6:7]
	s_cbranch_vccnz .LBB21_375
; %bb.374:
	v_cvt_i32_f32_e32 v1, v0
	global_store_short v[2:3], v1, off
.LBB21_375:
	s_mov_b64 s[6:7], 0
.LBB21_376:
	s_andn2_b64 vcc, exec, s[6:7]
	s_cbranch_vccnz .LBB21_381
; %bb.377:
	s_cmp_gt_i32 s8, 0
	s_mov_b64 s[6:7], -1
	s_cbranch_scc0 .LBB21_379
; %bb.378:
	v_cvt_i32_f32_e32 v1, v0
	s_mov_b64 s[6:7], 0
	global_store_byte v[2:3], v1, off
.LBB21_379:
	s_andn2_b64 vcc, exec, s[6:7]
	s_cbranch_vccnz .LBB21_381
; %bb.380:
	v_trunc_f32_e32 v0, v0
	s_mov_b32 s6, 0x2f800000
	v_mul_f32_e64 v1, |v0|, s6
	v_floor_f32_e32 v1, v1
	s_mov_b32 s6, 0xcf800000
	v_fma_f32 v1, v1, s6, |v0|
	v_cvt_u32_f32_e32 v1, v1
	v_ashrrev_i32_e32 v0, 31, v0
	v_xor_b32_e32 v1, v1, v0
	v_sub_u32_e32 v0, v1, v0
	global_store_byte v[2:3], v0, off
.LBB21_381:
	s_mov_b64 s[6:7], -1
.LBB21_382:
	s_andn2_b64 vcc, exec, s[6:7]
	s_cbranch_vccnz .LBB21_384
; %bb.383:
	v_add_u32_e32 v23, 0x80, v23
	s_mov_b64 s[6:7], -1
	s_branch .LBB21_385
.LBB21_384:
	s_mov_b64 s[6:7], 0
                                        ; implicit-def: $vgpr23
.LBB21_385:
	s_andn2_b64 s[8:9], s[46:47], exec
	s_and_b64 s[4:5], s[4:5], exec
	s_or_b64 s[52:53], s[8:9], s[4:5]
	s_orn2_b64 s[6:7], s[6:7], exec
.LBB21_386:
	s_or_b64 exec, exec, s[50:51]
	s_mov_b64 s[4:5], 0
	s_mov_b64 s[10:11], 0
                                        ; implicit-def: $sgpr14
                                        ; implicit-def: $vgpr2_vgpr3
                                        ; implicit-def: $vgpr0
	s_and_saveexec_b64 s[50:51], s[6:7]
	s_cbranch_execz .LBB21_466
; %bb.387:
	v_cmp_gt_i32_e32 vcc, s54, v23
	s_mov_b64 s[6:7], 0
	s_mov_b64 s[8:9], s[52:53]
                                        ; implicit-def: $sgpr14
                                        ; implicit-def: $vgpr2_vgpr3
                                        ; implicit-def: $vgpr0
	s_and_saveexec_b64 s[54:55], vcc
	s_cbranch_execz .LBB21_465
; %bb.388:
	s_getpc_b64 s[4:5]
	s_add_u32 s4, s4, _ZN2at6native6invokeIZZZNS0_12_GLOBAL__N_121bessel_y0_kernel_cudaERNS_18TensorIteratorBaseEENKUlvE_clEvENKUlvE0_clEvEUlfE_i15function_traitsIS7_EEENT1_11result_typeERKT_PrKPcPKT0_PKN3c1010ScalarTypeEi@rel32@lo+4
	s_addc_u32 s5, s5, _ZN2at6native6invokeIZZZNS0_12_GLOBAL__N_121bessel_y0_kernel_cudaERNS_18TensorIteratorBaseEENKUlvE_clEvENKUlvE0_clEvEUlfE_i15function_traitsIS7_EEENT1_11result_typeERKT_PrKPcPKT0_PKN3c1010ScalarTypeEi@rel32@hi+12
	v_mov_b32_e32 v0, s38
	v_mov_b32_e32 v1, s39
	;; [unrolled: 1-line block ×5, first 2 shown]
	s_swappc_b64 s[30:31], s[4:5]
	v_mul_lo_u32 v1, v23, s28
	v_mov_b32_e32 v3, s37
	s_and_b32 s14, s33, 0xff
	s_cmp_lt_i32 s14, 11
	v_ashrrev_i32_e32 v4, 31, v1
	v_add_co_u32_e32 v2, vcc, s36, v1
	v_addc_co_u32_e32 v3, vcc, v3, v4, vcc
	s_cbranch_scc1 .LBB21_405
; %bb.389:
	s_and_b32 s15, 0xffff, s14
	s_mov_b64 s[8:9], -1
	s_cmp_gt_i32 s15, 25
	s_mov_b64 s[4:5], s[52:53]
	s_cbranch_scc0 .LBB21_423
; %bb.390:
	s_mov_b64 s[6:7], -1
	s_cmp_gt_i32 s15, 28
	s_mov_b64 s[4:5], s[52:53]
	s_cbranch_scc0 .LBB21_407
; %bb.391:
	s_cmp_gt_i32 s15, 43
	s_mov_b64 s[4:5], s[52:53]
	s_cbranch_scc0 .LBB21_402
; %bb.392:
	;; [unrolled: 4-line block ×3, first 2 shown]
	s_cmp_eq_u32 s15, 46
	s_mov_b64 s[4:5], -1
	s_cbranch_scc0 .LBB21_395
; %bb.394:
	v_bfe_u32 v1, v0, 16, 1
	s_movk_i32 s4, 0x7fff
	v_add3_u32 v1, v0, v1, s4
	v_cmp_o_f32_e32 vcc, v0, v0
	v_mov_b32_e32 v4, 0x7fc0
	v_cndmask_b32_sdwa v1, v4, v1, vcc dst_sel:DWORD dst_unused:UNUSED_PAD src0_sel:DWORD src1_sel:WORD_1
	global_store_dword v[2:3], v1, off
	s_mov_b64 s[4:5], 0
.LBB21_395:
	s_mov_b64 s[6:7], 0
.LBB21_396:
	s_and_b64 vcc, exec, s[6:7]
	s_cbranch_vccz .LBB21_401
; %bb.397:
	s_cmp_eq_u32 s15, 44
	s_mov_b64 s[4:5], -1
	s_cbranch_scc0 .LBB21_401
; %bb.398:
	v_bfe_u32 v1, v0, 23, 8
	s_movk_i32 s4, 0xff
	v_cmp_ne_u32_e32 vcc, s4, v1
	v_mov_b32_e32 v4, 0xff
	s_and_saveexec_b64 s[6:7], vcc
; %bb.399:
	s_mov_b32 s4, 0x3fffff
	v_and_b32_e32 v5, 0x400000, v0
	v_and_or_b32 v1, v0, s4, v1
	v_cmp_ne_u32_e32 vcc, 0, v5
	v_cmp_ne_u32_e64 s[4:5], 0, v1
	s_and_b64 s[4:5], vcc, s[4:5]
	v_lshrrev_b32_e32 v4, 23, v0
	v_cndmask_b32_e64 v1, 0, 1, s[4:5]
	v_add_u32_e32 v4, v4, v1
; %bb.400:
	s_or_b64 exec, exec, s[6:7]
	s_mov_b64 s[4:5], 0
	global_store_byte v[2:3], v4, off
.LBB21_401:
	s_mov_b64 s[6:7], 0
.LBB21_402:
	s_and_b64 vcc, exec, s[6:7]
	s_cbranch_vccz .LBB21_406
; %bb.403:
	s_cmp_eq_u32 s15, 29
	s_mov_b64 s[4:5], -1
	s_cbranch_scc0 .LBB21_406
; %bb.404:
	v_trunc_f32_e32 v1, v0
	v_mul_f32_e32 v4, 0x2f800000, v1
	v_floor_f32_e32 v4, v4
	v_fmac_f32_e32 v1, 0xcf800000, v4
	v_cvt_u32_f32_e32 v5, v4
	v_cvt_u32_f32_e32 v4, v1
	s_mov_b64 s[4:5], 0
	s_mov_b64 s[6:7], 0
	global_store_dwordx2 v[2:3], v[4:5], off
	s_branch .LBB21_407
.LBB21_405:
	s_mov_b64 s[8:9], 0
	s_mov_b64 s[6:7], -1
	s_mov_b64 s[4:5], s[52:53]
	s_branch .LBB21_464
.LBB21_406:
	s_mov_b64 s[6:7], 0
.LBB21_407:
	s_and_b64 vcc, exec, s[6:7]
	s_cbranch_vccz .LBB21_422
; %bb.408:
	s_cmp_lt_i32 s15, 27
	s_mov_b64 s[6:7], -1
	s_cbranch_scc1 .LBB21_414
; %bb.409:
	v_cvt_u32_f32_e32 v1, v0
	s_cmp_gt_i32 s15, 27
	s_cbranch_scc0 .LBB21_411
; %bb.410:
	s_mov_b64 s[6:7], 0
	global_store_dword v[2:3], v1, off
.LBB21_411:
	s_andn2_b64 vcc, exec, s[6:7]
	s_cbranch_vccnz .LBB21_413
; %bb.412:
	global_store_short v[2:3], v1, off
.LBB21_413:
	s_mov_b64 s[6:7], 0
.LBB21_414:
	s_andn2_b64 vcc, exec, s[6:7]
	s_cbranch_vccnz .LBB21_422
; %bb.415:
	v_and_b32_e32 v1, 0x7fffffff, v0
	s_mov_b32 s6, 0x43800000
	v_cmp_gt_u32_e32 vcc, s6, v1
	v_mov_b32_e32 v4, 0x80
	s_and_saveexec_b64 s[6:7], vcc
	s_cbranch_execz .LBB21_421
; %bb.416:
	s_mov_b32 s8, 0x3bffffff
	v_cmp_lt_u32_e32 vcc, s8, v1
	s_mov_b64 s[8:9], 0
                                        ; implicit-def: $vgpr1
	s_and_saveexec_b64 s[10:11], vcc
	s_xor_b64 s[10:11], exec, s[10:11]
	s_cbranch_execz .LBB21_1007
; %bb.417:
	v_bfe_u32 v1, v0, 20, 1
	s_mov_b32 s12, 0x487ffff
	v_add3_u32 v1, v0, v1, s12
	s_mov_b64 s[8:9], exec
	v_lshrrev_b32_e32 v1, 20, v1
	s_andn2_saveexec_b64 s[10:11], s[10:11]
	s_cbranch_execnz .LBB21_1008
.LBB21_418:
	s_or_b64 exec, exec, s[10:11]
	v_mov_b32_e32 v4, 0
	s_and_saveexec_b64 s[10:11], s[8:9]
.LBB21_419:
	v_lshrrev_b32_e32 v4, 24, v0
	s_movk_i32 s8, 0x80
	v_and_or_b32 v4, v4, s8, v1
.LBB21_420:
	s_or_b64 exec, exec, s[10:11]
.LBB21_421:
	s_or_b64 exec, exec, s[6:7]
	global_store_byte v[2:3], v4, off
.LBB21_422:
	s_mov_b64 s[8:9], 0
.LBB21_423:
	s_mov_b64 s[6:7], 0
	s_and_b64 vcc, exec, s[8:9]
	s_cbranch_vccz .LBB21_463
; %bb.424:
	s_cmp_gt_i32 s15, 22
	s_mov_b64 s[8:9], -1
	s_cbranch_scc0 .LBB21_456
; %bb.425:
	s_cmp_lt_i32 s15, 24
	s_cbranch_scc1 .LBB21_445
; %bb.426:
	s_cmp_gt_i32 s15, 24
	s_cbranch_scc0 .LBB21_434
; %bb.427:
	v_and_b32_e32 v1, 0x7fffffff, v0
	s_mov_b32 s8, 0x47800000
	v_cmp_gt_u32_e32 vcc, s8, v1
	v_mov_b32_e32 v4, 0x80
	s_and_saveexec_b64 s[8:9], vcc
	s_cbranch_execz .LBB21_433
; %bb.428:
	s_mov_b32 s10, 0x37ffffff
	v_cmp_lt_u32_e32 vcc, s10, v1
	s_mov_b64 s[10:11], 0
                                        ; implicit-def: $vgpr1
	s_and_saveexec_b64 s[12:13], vcc
	s_xor_b64 s[12:13], exec, s[12:13]
	s_cbranch_execz .LBB21_1011
; %bb.429:
	v_bfe_u32 v1, v0, 21, 1
	s_mov_b32 s16, 0x88fffff
	v_add3_u32 v1, v0, v1, s16
	s_mov_b64 s[10:11], exec
	v_lshrrev_b32_e32 v1, 21, v1
	s_andn2_saveexec_b64 s[12:13], s[12:13]
	s_cbranch_execnz .LBB21_1012
.LBB21_430:
	s_or_b64 exec, exec, s[12:13]
	v_mov_b32_e32 v4, 0
	s_and_saveexec_b64 s[12:13], s[10:11]
.LBB21_431:
	v_lshrrev_b32_e32 v4, 24, v0
	s_movk_i32 s10, 0x80
	v_and_or_b32 v4, v4, s10, v1
.LBB21_432:
	s_or_b64 exec, exec, s[12:13]
.LBB21_433:
	s_or_b64 exec, exec, s[8:9]
	s_mov_b64 s[8:9], 0
	global_store_byte v[2:3], v4, off
.LBB21_434:
	s_and_b64 vcc, exec, s[8:9]
	s_cbranch_vccz .LBB21_444
; %bb.435:
	v_and_b32_e32 v4, 0x7fffffff, v0
	s_mov_b32 s8, 0x43f00000
	v_cmp_gt_u32_e32 vcc, s8, v4
                                        ; implicit-def: $vgpr1
	s_and_saveexec_b64 s[8:9], vcc
	s_xor_b64 s[8:9], exec, s[8:9]
	s_cbranch_execz .LBB21_441
; %bb.436:
	s_mov_b32 s10, 0x3c7fffff
	v_cmp_lt_u32_e32 vcc, s10, v4
                                        ; implicit-def: $vgpr1
	s_and_saveexec_b64 s[10:11], vcc
	s_xor_b64 s[10:11], exec, s[10:11]
; %bb.437:
	v_bfe_u32 v1, v0, 20, 1
	s_mov_b32 s12, 0x407ffff
	v_add3_u32 v1, v0, v1, s12
	v_lshrrev_b32_e32 v4, 20, v1
	v_and_b32_e32 v1, 0xff00000, v1
	s_mov_b32 s12, 0x7f00000
	v_mov_b32_e32 v5, 0x7e
	v_cmp_ne_u32_e32 vcc, s12, v1
	v_cndmask_b32_e32 v1, v5, v4, vcc
; %bb.438:
	s_andn2_saveexec_b64 s[10:11], s[10:11]
; %bb.439:
	s_mov_b32 s12, 0x46800000
	v_add_f32_e64 v1, |v0|, s12
; %bb.440:
	s_or_b64 exec, exec, s[10:11]
                                        ; implicit-def: $vgpr4
.LBB21_441:
	s_andn2_saveexec_b64 s[8:9], s[8:9]
; %bb.442:
	s_mov_b32 s10, 0x7f800000
	v_mov_b32_e32 v1, 0x7e
	v_mov_b32_e32 v5, 0x7f
	v_cmp_lt_u32_e32 vcc, s10, v4
	v_cndmask_b32_e32 v1, v1, v5, vcc
; %bb.443:
	s_or_b64 exec, exec, s[8:9]
	v_lshrrev_b32_e32 v4, 24, v0
	s_movk_i32 s8, 0x80
	v_and_or_b32 v1, v4, s8, v1
	global_store_byte v[2:3], v1, off
.LBB21_444:
	s_mov_b64 s[8:9], 0
.LBB21_445:
	s_andn2_b64 vcc, exec, s[8:9]
	s_cbranch_vccnz .LBB21_455
; %bb.446:
	v_and_b32_e32 v4, 0x7fffffff, v0
	s_mov_b32 s8, 0x47800000
	v_cmp_gt_u32_e32 vcc, s8, v4
                                        ; implicit-def: $vgpr1
	s_and_saveexec_b64 s[8:9], vcc
	s_xor_b64 s[8:9], exec, s[8:9]
	s_cbranch_execz .LBB21_452
; %bb.447:
	s_mov_b32 s10, 0x387fffff
	v_cmp_lt_u32_e32 vcc, s10, v4
                                        ; implicit-def: $vgpr1
	s_and_saveexec_b64 s[10:11], vcc
	s_xor_b64 s[10:11], exec, s[10:11]
; %bb.448:
	v_bfe_u32 v1, v0, 21, 1
	s_mov_b32 s12, 0x80fffff
	v_add3_u32 v1, v0, v1, s12
	v_lshrrev_b32_e32 v1, 21, v1
; %bb.449:
	s_andn2_saveexec_b64 s[10:11], s[10:11]
; %bb.450:
	s_mov_b32 s12, 0x43000000
	v_add_f32_e64 v1, |v0|, s12
; %bb.451:
	s_or_b64 exec, exec, s[10:11]
                                        ; implicit-def: $vgpr4
.LBB21_452:
	s_andn2_saveexec_b64 s[8:9], s[8:9]
; %bb.453:
	s_mov_b32 s10, 0x7f800000
	v_mov_b32_e32 v1, 0x7c
	v_mov_b32_e32 v5, 0x7f
	v_cmp_lt_u32_e32 vcc, s10, v4
	v_cndmask_b32_e32 v1, v1, v5, vcc
; %bb.454:
	s_or_b64 exec, exec, s[8:9]
	v_lshrrev_b32_e32 v4, 24, v0
	s_movk_i32 s8, 0x80
	v_and_or_b32 v1, v4, s8, v1
	global_store_byte v[2:3], v1, off
.LBB21_455:
	s_mov_b64 s[8:9], 0
.LBB21_456:
	s_andn2_b64 vcc, exec, s[8:9]
	s_mov_b64 s[8:9], 0
	s_cbranch_vccnz .LBB21_464
; %bb.457:
	s_cmp_gt_i32 s15, 14
	s_mov_b64 s[10:11], -1
	s_cbranch_scc0 .LBB21_461
; %bb.458:
	s_cmp_eq_u32 s15, 15
	s_mov_b64 s[4:5], -1
	s_cbranch_scc0 .LBB21_460
; %bb.459:
	v_bfe_u32 v1, v0, 16, 1
	s_movk_i32 s4, 0x7fff
	v_add3_u32 v1, v0, v1, s4
	v_cmp_o_f32_e32 vcc, v0, v0
	v_mov_b32_e32 v4, 0x7fc0
	v_cndmask_b32_sdwa v1, v4, v1, vcc dst_sel:DWORD dst_unused:UNUSED_PAD src0_sel:DWORD src1_sel:WORD_1
	global_store_short v[2:3], v1, off
	s_mov_b64 s[4:5], 0
.LBB21_460:
	s_mov_b64 s[10:11], 0
.LBB21_461:
	s_and_b64 vcc, exec, s[10:11]
	s_cbranch_vccz .LBB21_464
; %bb.462:
	s_cmp_lg_u32 s15, 11
	s_cselect_b64 s[10:11], -1, 0
	s_andn2_b64 s[4:5], s[4:5], exec
	s_and_b64 s[10:11], s[10:11], exec
	s_mov_b64 s[8:9], -1
	s_or_b64 s[4:5], s[4:5], s[10:11]
	s_branch .LBB21_464
.LBB21_463:
	s_mov_b64 s[8:9], 0
.LBB21_464:
	s_and_b64 s[10:11], s[6:7], exec
	s_and_b64 s[6:7], s[8:9], exec
	s_andn2_b64 s[8:9], s[52:53], exec
	s_and_b64 s[4:5], s[4:5], exec
	s_or_b64 s[8:9], s[8:9], s[4:5]
.LBB21_465:
	s_or_b64 exec, exec, s[54:55]
	s_and_b64 s[4:5], s[6:7], exec
	s_andn2_b64 s[6:7], s[52:53], exec
	s_and_b64 s[8:9], s[8:9], exec
	s_and_b64 s[10:11], s[10:11], exec
	s_or_b64 s[52:53], s[6:7], s[8:9]
.LBB21_466:
	s_or_b64 exec, exec, s[50:51]
	s_and_b64 s[6:7], s[10:11], exec
	s_andn2_b64 s[8:9], s[46:47], exec
	s_and_b64 s[10:11], s[52:53], exec
	s_and_b64 s[4:5], s[4:5], exec
	s_or_b64 s[46:47], s[8:9], s[10:11]
.LBB21_467:
	s_or_b64 exec, exec, s[48:49]
	s_and_b64 s[48:49], s[4:5], exec
	s_andn2_b64 s[4:5], s[42:43], exec
	s_and_b64 s[8:9], s[46:47], exec
	s_and_b64 s[6:7], s[6:7], exec
	s_or_b64 s[42:43], s[4:5], s[8:9]
	s_or_b64 exec, exec, s[44:45]
	s_mov_b64 s[4:5], 0
	s_and_saveexec_b64 s[8:9], s[42:43]
	s_cbranch_execz .LBB21_134
.LBB21_468:
	s_mov_b64 s[4:5], exec
	s_andn2_b64 s[48:49], s[48:49], exec
	s_trap 2
	s_or_b64 exec, exec, s[8:9]
	s_and_saveexec_b64 s[8:9], s[48:49]
	s_xor_b64 s[8:9], exec, s[8:9]
	s_cbranch_execnz .LBB21_135
.LBB21_469:
	s_or_b64 exec, exec, s[8:9]
	s_and_saveexec_b64 s[8:9], s[6:7]
	s_xor_b64 s[6:7], exec, s[8:9]
	s_cbranch_execz .LBB21_507
.LBB21_470:
	s_sext_i32_i16 s10, s14
	s_cmp_lt_i32 s10, 5
	s_mov_b64 s[8:9], -1
	s_cbranch_scc1 .LBB21_491
; %bb.471:
	s_cmp_lt_i32 s10, 8
	s_cbranch_scc1 .LBB21_481
; %bb.472:
	s_cmp_lt_i32 s10, 9
	s_cbranch_scc1 .LBB21_478
; %bb.473:
	s_cmp_gt_i32 s10, 9
	s_cbranch_scc0 .LBB21_475
; %bb.474:
	v_cvt_f64_f32_e32 v[4:5], v0
	v_mov_b32_e32 v6, 0
	v_mov_b32_e32 v7, v6
	s_mov_b64 s[8:9], 0
	global_store_dwordx4 v[2:3], v[4:7], off
.LBB21_475:
	s_andn2_b64 vcc, exec, s[8:9]
	s_cbranch_vccnz .LBB21_477
; %bb.476:
	v_mov_b32_e32 v1, 0
	global_store_dwordx2 v[2:3], v[0:1], off
.LBB21_477:
	s_mov_b64 s[8:9], 0
.LBB21_478:
	s_andn2_b64 vcc, exec, s[8:9]
	s_cbranch_vccnz .LBB21_480
; %bb.479:
	v_cvt_f16_f32_e32 v1, v0
	global_store_dword v[2:3], v1, off
.LBB21_480:
	s_mov_b64 s[8:9], 0
.LBB21_481:
	s_andn2_b64 vcc, exec, s[8:9]
	s_cbranch_vccnz .LBB21_490
; %bb.482:
	s_sext_i32_i16 s10, s14
	s_cmp_lt_i32 s10, 6
	s_mov_b64 s[8:9], -1
	s_cbranch_scc1 .LBB21_488
; %bb.483:
	s_cmp_gt_i32 s10, 6
	s_cbranch_scc0 .LBB21_485
; %bb.484:
	v_cvt_f64_f32_e32 v[4:5], v0
	s_mov_b64 s[8:9], 0
	global_store_dwordx2 v[2:3], v[4:5], off
.LBB21_485:
	s_andn2_b64 vcc, exec, s[8:9]
	s_cbranch_vccnz .LBB21_487
; %bb.486:
	global_store_dword v[2:3], v0, off
.LBB21_487:
	s_mov_b64 s[8:9], 0
.LBB21_488:
	s_andn2_b64 vcc, exec, s[8:9]
	s_cbranch_vccnz .LBB21_490
; %bb.489:
	v_cvt_f16_f32_e32 v1, v0
	global_store_short v[2:3], v1, off
.LBB21_490:
	s_mov_b64 s[8:9], 0
.LBB21_491:
	s_andn2_b64 vcc, exec, s[8:9]
	s_cbranch_vccnz .LBB21_507
; %bb.492:
	s_sext_i32_i16 s10, s14
	s_cmp_lt_i32 s10, 2
	s_mov_b64 s[8:9], -1
	s_cbranch_scc1 .LBB21_502
; %bb.493:
	s_cmp_lt_i32 s10, 3
	s_cbranch_scc1 .LBB21_499
; %bb.494:
	s_cmp_gt_i32 s10, 3
	s_cbranch_scc0 .LBB21_496
; %bb.495:
	v_trunc_f32_e32 v1, v0
	s_mov_b32 s8, 0x2f800000
	v_mul_f32_e64 v4, |v1|, s8
	v_floor_f32_e32 v4, v4
	s_mov_b32 s8, 0xcf800000
	v_cvt_u32_f32_e32 v5, v4
	v_fma_f32 v4, v4, s8, |v1|
	v_cvt_u32_f32_e32 v4, v4
	v_ashrrev_i32_e32 v1, 31, v1
	v_xor_b32_e32 v5, v5, v1
	s_mov_b64 s[8:9], 0
	v_xor_b32_e32 v4, v4, v1
	v_sub_co_u32_e32 v4, vcc, v4, v1
	v_subb_co_u32_e32 v5, vcc, v5, v1, vcc
	global_store_dwordx2 v[2:3], v[4:5], off
.LBB21_496:
	s_andn2_b64 vcc, exec, s[8:9]
	s_cbranch_vccnz .LBB21_498
; %bb.497:
	v_cvt_i32_f32_e32 v1, v0
	global_store_dword v[2:3], v1, off
.LBB21_498:
	s_mov_b64 s[8:9], 0
.LBB21_499:
	s_andn2_b64 vcc, exec, s[8:9]
	s_cbranch_vccnz .LBB21_501
; %bb.500:
	v_cvt_i32_f32_e32 v1, v0
	global_store_short v[2:3], v1, off
.LBB21_501:
	s_mov_b64 s[8:9], 0
.LBB21_502:
	s_andn2_b64 vcc, exec, s[8:9]
	s_cbranch_vccnz .LBB21_507
; %bb.503:
	s_sext_i32_i16 s8, s14
	s_cmp_gt_i32 s8, 0
	s_mov_b64 s[8:9], -1
	s_cbranch_scc0 .LBB21_505
; %bb.504:
	v_cvt_i32_f32_e32 v1, v0
	s_mov_b64 s[8:9], 0
	global_store_byte v[2:3], v1, off
.LBB21_505:
	s_andn2_b64 vcc, exec, s[8:9]
	s_cbranch_vccnz .LBB21_507
; %bb.506:
	v_trunc_f32_e32 v0, v0
	s_mov_b32 s8, 0x2f800000
	v_mul_f32_e64 v1, |v0|, s8
	v_floor_f32_e32 v1, v1
	s_mov_b32 s8, 0xcf800000
	v_fma_f32 v1, v1, s8, |v0|
	v_cvt_u32_f32_e32 v1, v1
	v_ashrrev_i32_e32 v0, 31, v0
	v_xor_b32_e32 v1, v1, v0
	v_sub_u32_e32 v0, v1, v0
	global_store_byte v[2:3], v0, off
.LBB21_507:
	s_or_b64 exec, exec, s[6:7]
	s_and_b64 s[42:43], s[4:5], exec
                                        ; implicit-def: $vgpr23
                                        ; implicit-def: $vgpr24
                                        ; implicit-def: $vgpr25
.LBB21_508:
	s_or_saveexec_b64 s[40:41], s[40:41]
	s_mov_b64 s[4:5], 0
                                        ; implicit-def: $sgpr16
                                        ; implicit-def: $vgpr2_vgpr3
                                        ; implicit-def: $vgpr0
	s_xor_b64 exec, exec, s[40:41]
	s_cbranch_execz .LBB21_941
; %bb.509:
	s_getpc_b64 s[34:35]
	s_add_u32 s34, s34, _ZN2at6native6invokeIZZZNS0_12_GLOBAL__N_121bessel_y0_kernel_cudaERNS_18TensorIteratorBaseEENKUlvE_clEvENKUlvE0_clEvEUlfE_i15function_traitsIS7_EEENT1_11result_typeERKT_PrKPcPKT0_PKN3c1010ScalarTypeEi@rel32@lo+4
	s_addc_u32 s35, s35, _ZN2at6native6invokeIZZZNS0_12_GLOBAL__N_121bessel_y0_kernel_cudaERNS_18TensorIteratorBaseEENKUlvE_clEvENKUlvE0_clEvEUlfE_i15function_traitsIS7_EEENT1_11result_typeERKT_PrKPcPKT0_PKN3c1010ScalarTypeEi@rel32@hi+12
	v_mov_b32_e32 v0, s38
	v_mov_b32_e32 v1, s39
	;; [unrolled: 1-line block ×5, first 2 shown]
	v_add_u32_e32 v20, 0x80, v23
	v_add_u32_e32 v26, 0x100, v23
	s_swappc_b64 s[30:31], s[34:35]
	v_mov_b32_e32 v22, v0
	v_mov_b32_e32 v0, s38
	v_mov_b32_e32 v1, s39
	v_mov_b32_e32 v2, s29
	v_mov_b32_e32 v3, v24
	v_mov_b32_e32 v4, v20
	s_swappc_b64 s[30:31], s[34:35]
	v_mov_b32_e32 v21, v0
	v_mov_b32_e32 v0, s38
	v_mov_b32_e32 v1, s39
	v_mov_b32_e32 v2, s29
	v_mov_b32_e32 v3, v24
	v_mov_b32_e32 v4, v26
	;; [unrolled: 7-line block ×3, first 2 shown]
	s_swappc_b64 s[30:31], s[34:35]
	v_mul_lo_u32 v3, s28, v23
	v_mov_b32_e32 v2, s37
	s_and_b32 s16, s33, 0xff
	s_cmp_lt_i32 s16, 11
	v_ashrrev_i32_e32 v4, 31, v3
	v_add_co_u32_e32 v1, vcc, s36, v3
	v_addc_co_u32_e32 v2, vcc, v2, v4, vcc
	s_cbranch_scc1 .LBB21_588
; %bb.510:
	s_and_b32 s14, 0xffff, s16
	s_mov_b64 s[6:7], -1
	s_mov_b64 s[8:9], 0
	s_cmp_gt_i32 s14, 25
	s_mov_b64 s[10:11], 0
	s_mov_b64 s[4:5], 0
	s_cbranch_scc0 .LBB21_543
; %bb.511:
	s_cmp_gt_i32 s14, 28
	s_cbranch_scc0 .LBB21_526
; %bb.512:
	s_cmp_gt_i32 s14, 43
	;; [unrolled: 3-line block ×3, first 2 shown]
	s_cbranch_scc0 .LBB21_516
; %bb.514:
	s_mov_b64 s[4:5], -1
	s_mov_b64 s[6:7], 0
	s_cmp_eq_u32 s14, 46
	s_cbranch_scc0 .LBB21_516
; %bb.515:
	v_bfe_u32 v4, v22, 16, 1
	s_movk_i32 s4, 0x7fff
	v_add3_u32 v4, v22, v4, s4
	v_cmp_o_f32_e32 vcc, v22, v22
	v_mov_b32_e32 v5, 0x7fc0
	v_cndmask_b32_sdwa v4, v5, v4, vcc dst_sel:DWORD dst_unused:UNUSED_PAD src0_sel:DWORD src1_sel:WORD_1
	global_store_dword v[1:2], v4, off
	s_mov_b64 s[4:5], 0
	s_mov_b64 s[10:11], -1
.LBB21_516:
	s_and_b64 vcc, exec, s[6:7]
	s_cbranch_vccz .LBB21_521
; %bb.517:
	s_cmp_eq_u32 s14, 44
	s_mov_b64 s[4:5], -1
	s_cbranch_scc0 .LBB21_521
; %bb.518:
	v_bfe_u32 v4, v22, 23, 8
	s_movk_i32 s4, 0xff
	v_cmp_ne_u32_e32 vcc, s4, v4
	v_mov_b32_e32 v5, 0xff
	s_and_saveexec_b64 s[6:7], vcc
; %bb.519:
	s_mov_b32 s4, 0x3fffff
	v_and_b32_e32 v6, 0x400000, v22
	v_and_or_b32 v4, v22, s4, v4
	v_cmp_ne_u32_e32 vcc, 0, v6
	v_cmp_ne_u32_e64 s[4:5], 0, v4
	s_and_b64 s[4:5], vcc, s[4:5]
	v_lshrrev_b32_e32 v5, 23, v22
	v_cndmask_b32_e64 v4, 0, 1, s[4:5]
	v_add_u32_e32 v5, v5, v4
; %bb.520:
	s_or_b64 exec, exec, s[6:7]
	s_mov_b64 s[4:5], 0
	s_mov_b64 s[10:11], -1
	global_store_byte v[1:2], v5, off
.LBB21_521:
	s_mov_b64 s[6:7], 0
.LBB21_522:
	s_and_b64 vcc, exec, s[6:7]
	s_cbranch_vccz .LBB21_525
; %bb.523:
	s_cmp_eq_u32 s14, 29
	s_mov_b64 s[4:5], -1
	s_cbranch_scc0 .LBB21_525
; %bb.524:
	v_trunc_f32_e32 v4, v22
	v_mul_f32_e32 v5, 0x2f800000, v4
	v_floor_f32_e32 v6, v5
	v_fmac_f32_e32 v4, 0xcf800000, v6
	v_cvt_u32_f32_e32 v5, v6
	v_cvt_u32_f32_e32 v4, v4
	s_mov_b64 s[4:5], 0
	s_mov_b64 s[10:11], -1
	global_store_dwordx2 v[1:2], v[4:5], off
.LBB21_525:
	s_mov_b64 s[6:7], 0
.LBB21_526:
	s_and_b64 vcc, exec, s[6:7]
	s_cbranch_vccz .LBB21_542
; %bb.527:
	s_cmp_lt_i32 s14, 27
	s_mov_b64 s[6:7], -1
	s_cbranch_scc1 .LBB21_533
; %bb.528:
	v_cvt_u32_f32_e32 v4, v22
	s_cmp_gt_i32 s14, 27
	s_cbranch_scc0 .LBB21_530
; %bb.529:
	s_mov_b64 s[6:7], 0
	global_store_dword v[1:2], v4, off
.LBB21_530:
	s_andn2_b64 vcc, exec, s[6:7]
	s_cbranch_vccnz .LBB21_532
; %bb.531:
	global_store_short v[1:2], v4, off
.LBB21_532:
	s_mov_b64 s[6:7], 0
.LBB21_533:
	s_andn2_b64 vcc, exec, s[6:7]
	s_cbranch_vccnz .LBB21_541
; %bb.534:
	v_and_b32_e32 v4, 0x7fffffff, v22
	s_mov_b32 s6, 0x43800000
	v_cmp_gt_u32_e32 vcc, s6, v4
	v_mov_b32_e32 v5, 0x80
	s_and_saveexec_b64 s[6:7], vcc
	s_cbranch_execz .LBB21_540
; %bb.535:
	s_mov_b32 s10, 0x3bffffff
	v_cmp_lt_u32_e32 vcc, s10, v4
	s_mov_b64 s[10:11], 0
                                        ; implicit-def: $vgpr4
	s_and_saveexec_b64 s[12:13], vcc
	s_xor_b64 s[12:13], exec, s[12:13]
	s_cbranch_execz .LBB21_985
; %bb.536:
	v_bfe_u32 v4, v22, 20, 1
	s_mov_b32 s15, 0x487ffff
	v_add3_u32 v4, v22, v4, s15
	s_mov_b64 s[10:11], exec
	v_lshrrev_b32_e32 v4, 20, v4
	s_andn2_saveexec_b64 s[12:13], s[12:13]
	s_cbranch_execnz .LBB21_986
.LBB21_537:
	s_or_b64 exec, exec, s[12:13]
	v_mov_b32_e32 v5, 0
	s_and_saveexec_b64 s[12:13], s[10:11]
.LBB21_538:
	v_lshrrev_b32_e32 v5, 24, v22
	s_movk_i32 s10, 0x80
	v_and_or_b32 v5, v5, s10, v4
.LBB21_539:
	s_or_b64 exec, exec, s[12:13]
.LBB21_540:
	s_or_b64 exec, exec, s[6:7]
	global_store_byte v[1:2], v5, off
.LBB21_541:
	s_mov_b64 s[10:11], -1
.LBB21_542:
	s_mov_b64 s[6:7], 0
.LBB21_543:
	s_and_b64 vcc, exec, s[6:7]
	s_cbranch_vccz .LBB21_583
; %bb.544:
	s_cmp_gt_i32 s14, 22
	s_mov_b64 s[6:7], -1
	s_cbranch_scc0 .LBB21_576
; %bb.545:
	s_cmp_lt_i32 s14, 24
	s_cbranch_scc1 .LBB21_565
; %bb.546:
	s_cmp_gt_i32 s14, 24
	s_cbranch_scc0 .LBB21_554
; %bb.547:
	v_and_b32_e32 v4, 0x7fffffff, v22
	s_mov_b32 s6, 0x47800000
	v_cmp_gt_u32_e32 vcc, s6, v4
	v_mov_b32_e32 v5, 0x80
	s_and_saveexec_b64 s[6:7], vcc
	s_cbranch_execz .LBB21_553
; %bb.548:
	s_mov_b32 s8, 0x37ffffff
	v_cmp_lt_u32_e32 vcc, s8, v4
	s_mov_b64 s[8:9], 0
                                        ; implicit-def: $vgpr4
	s_and_saveexec_b64 s[10:11], vcc
	s_xor_b64 s[10:11], exec, s[10:11]
	s_cbranch_execz .LBB21_988
; %bb.549:
	v_bfe_u32 v4, v22, 21, 1
	s_mov_b32 s12, 0x88fffff
	v_add3_u32 v4, v22, v4, s12
	s_mov_b64 s[8:9], exec
	v_lshrrev_b32_e32 v4, 21, v4
	s_andn2_saveexec_b64 s[10:11], s[10:11]
	s_cbranch_execnz .LBB21_989
.LBB21_550:
	s_or_b64 exec, exec, s[10:11]
	v_mov_b32_e32 v5, 0
	s_and_saveexec_b64 s[10:11], s[8:9]
.LBB21_551:
	v_lshrrev_b32_e32 v5, 24, v22
	s_movk_i32 s8, 0x80
	v_and_or_b32 v5, v5, s8, v4
.LBB21_552:
	s_or_b64 exec, exec, s[10:11]
.LBB21_553:
	s_or_b64 exec, exec, s[6:7]
	s_mov_b64 s[6:7], 0
	global_store_byte v[1:2], v5, off
.LBB21_554:
	s_and_b64 vcc, exec, s[6:7]
	s_cbranch_vccz .LBB21_564
; %bb.555:
	v_and_b32_e32 v5, 0x7fffffff, v22
	s_mov_b32 s6, 0x43f00000
	v_cmp_gt_u32_e32 vcc, s6, v5
                                        ; implicit-def: $vgpr4
	s_and_saveexec_b64 s[6:7], vcc
	s_xor_b64 s[6:7], exec, s[6:7]
	s_cbranch_execz .LBB21_561
; %bb.556:
	s_mov_b32 s8, 0x3c7fffff
	v_cmp_lt_u32_e32 vcc, s8, v5
                                        ; implicit-def: $vgpr4
	s_and_saveexec_b64 s[8:9], vcc
	s_xor_b64 s[8:9], exec, s[8:9]
; %bb.557:
	v_bfe_u32 v4, v22, 20, 1
	s_mov_b32 s10, 0x407ffff
	v_add3_u32 v4, v22, v4, s10
	v_lshrrev_b32_e32 v5, 20, v4
	v_and_b32_e32 v4, 0xff00000, v4
	s_mov_b32 s10, 0x7f00000
	v_mov_b32_e32 v6, 0x7e
	v_cmp_ne_u32_e32 vcc, s10, v4
	v_cndmask_b32_e32 v4, v6, v5, vcc
; %bb.558:
	s_andn2_saveexec_b64 s[8:9], s[8:9]
; %bb.559:
	s_mov_b32 s10, 0x46800000
	v_add_f32_e64 v4, |v22|, s10
; %bb.560:
	s_or_b64 exec, exec, s[8:9]
                                        ; implicit-def: $vgpr5
.LBB21_561:
	s_andn2_saveexec_b64 s[6:7], s[6:7]
; %bb.562:
	s_mov_b32 s8, 0x7f800000
	v_mov_b32_e32 v4, 0x7e
	v_mov_b32_e32 v6, 0x7f
	v_cmp_lt_u32_e32 vcc, s8, v5
	v_cndmask_b32_e32 v4, v4, v6, vcc
; %bb.563:
	s_or_b64 exec, exec, s[6:7]
	v_lshrrev_b32_e32 v5, 24, v22
	s_movk_i32 s6, 0x80
	v_and_or_b32 v4, v5, s6, v4
	global_store_byte v[1:2], v4, off
.LBB21_564:
	s_mov_b64 s[6:7], 0
.LBB21_565:
	s_andn2_b64 vcc, exec, s[6:7]
	s_cbranch_vccnz .LBB21_575
; %bb.566:
	v_and_b32_e32 v5, 0x7fffffff, v22
	s_mov_b32 s6, 0x47800000
	v_cmp_gt_u32_e32 vcc, s6, v5
                                        ; implicit-def: $vgpr4
	s_and_saveexec_b64 s[6:7], vcc
	s_xor_b64 s[6:7], exec, s[6:7]
	s_cbranch_execz .LBB21_572
; %bb.567:
	s_mov_b32 s8, 0x387fffff
	v_cmp_lt_u32_e32 vcc, s8, v5
                                        ; implicit-def: $vgpr4
	s_and_saveexec_b64 s[8:9], vcc
	s_xor_b64 s[8:9], exec, s[8:9]
; %bb.568:
	v_bfe_u32 v4, v22, 21, 1
	s_mov_b32 s10, 0x80fffff
	v_add3_u32 v4, v22, v4, s10
	v_lshrrev_b32_e32 v4, 21, v4
; %bb.569:
	s_andn2_saveexec_b64 s[8:9], s[8:9]
; %bb.570:
	s_mov_b32 s10, 0x43000000
	v_add_f32_e64 v4, |v22|, s10
; %bb.571:
	s_or_b64 exec, exec, s[8:9]
                                        ; implicit-def: $vgpr5
.LBB21_572:
	s_andn2_saveexec_b64 s[6:7], s[6:7]
; %bb.573:
	s_mov_b32 s8, 0x7f800000
	v_mov_b32_e32 v4, 0x7c
	v_mov_b32_e32 v6, 0x7f
	v_cmp_lt_u32_e32 vcc, s8, v5
	v_cndmask_b32_e32 v4, v4, v6, vcc
; %bb.574:
	s_or_b64 exec, exec, s[6:7]
	v_lshrrev_b32_e32 v5, 24, v22
	s_movk_i32 s6, 0x80
	v_and_or_b32 v4, v5, s6, v4
	global_store_byte v[1:2], v4, off
.LBB21_575:
	s_mov_b64 s[6:7], 0
	s_mov_b64 s[10:11], -1
.LBB21_576:
	s_andn2_b64 vcc, exec, s[6:7]
	s_mov_b64 s[8:9], 0
	s_cbranch_vccnz .LBB21_583
; %bb.577:
	s_cmp_gt_i32 s14, 14
	s_mov_b64 s[6:7], -1
	s_cbranch_scc0 .LBB21_581
; %bb.578:
	s_cmp_eq_u32 s14, 15
	s_mov_b64 s[4:5], -1
	s_cbranch_scc0 .LBB21_580
; %bb.579:
	v_bfe_u32 v4, v22, 16, 1
	s_movk_i32 s4, 0x7fff
	v_add3_u32 v4, v22, v4, s4
	v_cmp_o_f32_e32 vcc, v22, v22
	v_mov_b32_e32 v5, 0x7fc0
	v_cndmask_b32_sdwa v4, v5, v4, vcc dst_sel:DWORD dst_unused:UNUSED_PAD src0_sel:DWORD src1_sel:WORD_1
	global_store_short v[1:2], v4, off
	s_mov_b64 s[4:5], 0
	s_mov_b64 s[10:11], -1
.LBB21_580:
	s_mov_b64 s[6:7], 0
.LBB21_581:
	s_and_b64 vcc, exec, s[6:7]
	s_cbranch_vccz .LBB21_583
; %bb.582:
	s_cmp_lg_u32 s14, 11
	s_mov_b64 s[8:9], -1
	s_cselect_b64 s[4:5], -1, 0
.LBB21_583:
	s_and_b64 vcc, exec, s[4:5]
	s_mov_b64 s[6:7], s[42:43]
	s_cbranch_vccnz .LBB21_987
; %bb.584:
	s_andn2_b64 vcc, exec, s[8:9]
	s_cbranch_vccnz .LBB21_586
.LBB21_585:
	v_cmp_neq_f32_e32 vcc, 0, v22
	v_cndmask_b32_e64 v4, 0, 1, vcc
	global_store_byte v[1:2], v4, off
	s_mov_b64 s[10:11], -1
.LBB21_586:
.LBB21_587:
	s_andn2_b64 vcc, exec, s[10:11]
	s_cbranch_vccz .LBB21_627
	s_branch .LBB21_939
.LBB21_588:
	s_mov_b64 s[10:11], 0
	s_mov_b64 s[6:7], s[42:43]
	s_cbranch_execz .LBB21_587
; %bb.589:
	s_and_b32 s8, 0xffff, s16
	s_cmp_lt_i32 s8, 5
	s_mov_b64 s[4:5], -1
	s_cbranch_scc1 .LBB21_610
; %bb.590:
	s_cmp_lt_i32 s8, 8
	s_cbranch_scc1 .LBB21_600
; %bb.591:
	s_cmp_lt_i32 s8, 9
	s_cbranch_scc1 .LBB21_597
; %bb.592:
	s_cmp_gt_i32 s8, 9
	s_cbranch_scc0 .LBB21_594
; %bb.593:
	v_cvt_f64_f32_e32 v[4:5], v22
	v_mov_b32_e32 v6, 0
	v_mov_b32_e32 v7, v6
	s_mov_b64 s[4:5], 0
	global_store_dwordx4 v[1:2], v[4:7], off
.LBB21_594:
	s_andn2_b64 vcc, exec, s[4:5]
	s_cbranch_vccnz .LBB21_596
; %bb.595:
	v_mov_b32_e32 v23, 0
	global_store_dwordx2 v[1:2], v[22:23], off
.LBB21_596:
	s_mov_b64 s[4:5], 0
.LBB21_597:
	s_andn2_b64 vcc, exec, s[4:5]
	s_cbranch_vccnz .LBB21_599
; %bb.598:
	v_cvt_f16_f32_e32 v4, v22
	global_store_dword v[1:2], v4, off
.LBB21_599:
	s_mov_b64 s[4:5], 0
.LBB21_600:
	s_andn2_b64 vcc, exec, s[4:5]
	s_cbranch_vccnz .LBB21_609
; %bb.601:
	s_cmp_lt_i32 s8, 6
	s_mov_b64 s[4:5], -1
	s_cbranch_scc1 .LBB21_607
; %bb.602:
	s_cmp_gt_i32 s8, 6
	s_cbranch_scc0 .LBB21_604
; %bb.603:
	v_cvt_f64_f32_e32 v[4:5], v22
	s_mov_b64 s[4:5], 0
	global_store_dwordx2 v[1:2], v[4:5], off
.LBB21_604:
	s_andn2_b64 vcc, exec, s[4:5]
	s_cbranch_vccnz .LBB21_606
; %bb.605:
	global_store_dword v[1:2], v22, off
.LBB21_606:
	s_mov_b64 s[4:5], 0
.LBB21_607:
	s_andn2_b64 vcc, exec, s[4:5]
	s_cbranch_vccnz .LBB21_609
; %bb.608:
	v_cvt_f16_f32_e32 v4, v22
	global_store_short v[1:2], v4, off
.LBB21_609:
	s_mov_b64 s[4:5], 0
.LBB21_610:
	s_andn2_b64 vcc, exec, s[4:5]
	s_cbranch_vccnz .LBB21_626
; %bb.611:
	s_cmp_lt_i32 s8, 2
	s_mov_b64 s[4:5], -1
	s_cbranch_scc1 .LBB21_621
; %bb.612:
	s_cmp_lt_i32 s8, 3
	s_cbranch_scc1 .LBB21_618
; %bb.613:
	s_cmp_gt_i32 s8, 3
	s_cbranch_scc0 .LBB21_615
; %bb.614:
	v_trunc_f32_e32 v4, v22
	s_mov_b32 s4, 0x2f800000
	v_mul_f32_e64 v5, |v4|, s4
	v_floor_f32_e32 v5, v5
	s_mov_b32 s4, 0xcf800000
	v_cvt_u32_f32_e32 v6, v5
	v_fma_f32 v5, v5, s4, |v4|
	v_cvt_u32_f32_e32 v5, v5
	v_ashrrev_i32_e32 v7, 31, v4
	v_xor_b32_e32 v6, v6, v7
	s_mov_b64 s[4:5], 0
	v_xor_b32_e32 v4, v5, v7
	v_sub_co_u32_e32 v4, vcc, v4, v7
	v_subb_co_u32_e32 v5, vcc, v6, v7, vcc
	global_store_dwordx2 v[1:2], v[4:5], off
.LBB21_615:
	s_andn2_b64 vcc, exec, s[4:5]
	s_cbranch_vccnz .LBB21_617
; %bb.616:
	v_cvt_i32_f32_e32 v4, v22
	global_store_dword v[1:2], v4, off
.LBB21_617:
	s_mov_b64 s[4:5], 0
.LBB21_618:
	s_andn2_b64 vcc, exec, s[4:5]
	s_cbranch_vccnz .LBB21_620
; %bb.619:
	v_cvt_i32_f32_e32 v4, v22
	global_store_short v[1:2], v4, off
.LBB21_620:
	s_mov_b64 s[4:5], 0
.LBB21_621:
	s_andn2_b64 vcc, exec, s[4:5]
	s_cbranch_vccnz .LBB21_626
; %bb.622:
	s_cmp_gt_i32 s8, 0
	s_mov_b64 s[4:5], -1
	s_cbranch_scc0 .LBB21_624
; %bb.623:
	v_cvt_i32_f32_e32 v4, v22
	s_mov_b64 s[4:5], 0
	global_store_byte v[1:2], v4, off
.LBB21_624:
	s_andn2_b64 vcc, exec, s[4:5]
	s_cbranch_vccnz .LBB21_626
; %bb.625:
	v_trunc_f32_e32 v4, v22
	s_mov_b32 s4, 0x2f800000
	v_mul_f32_e64 v5, |v4|, s4
	v_floor_f32_e32 v5, v5
	s_mov_b32 s4, 0xcf800000
	v_fma_f32 v5, v5, s4, |v4|
	v_cvt_u32_f32_e32 v5, v5
	v_ashrrev_i32_e32 v4, 31, v4
	v_xor_b32_e32 v5, v5, v4
	v_sub_u32_e32 v4, v5, v4
	global_store_byte v[1:2], v4, off
.LBB21_626:
.LBB21_627:
	s_lshl_b32 s17, s28, 7
	v_add_u32_e32 v3, s17, v3
	v_ashrrev_i32_e32 v2, 31, v3
	v_mov_b32_e32 v4, s37
	v_add_co_u32_e32 v1, vcc, s36, v3
	s_cmp_lt_i32 s16, 11
	v_addc_co_u32_e32 v2, vcc, v4, v2, vcc
	s_cbranch_scc1 .LBB21_706
; %bb.628:
	s_and_b32 s18, 0xffff, s16
	s_mov_b64 s[12:13], -1
	s_mov_b64 s[8:9], 0
	s_cmp_gt_i32 s18, 25
	s_mov_b64 s[10:11], 0
	s_mov_b64 s[4:5], 0
	s_cbranch_scc0 .LBB21_661
; %bb.629:
	s_cmp_gt_i32 s18, 28
	s_cbranch_scc0 .LBB21_644
; %bb.630:
	s_cmp_gt_i32 s18, 43
	;; [unrolled: 3-line block ×3, first 2 shown]
	s_cbranch_scc0 .LBB21_634
; %bb.632:
	s_mov_b64 s[4:5], -1
	s_mov_b64 s[12:13], 0
	s_cmp_eq_u32 s18, 46
	s_cbranch_scc0 .LBB21_634
; %bb.633:
	v_bfe_u32 v4, v21, 16, 1
	s_movk_i32 s4, 0x7fff
	v_add3_u32 v4, v21, v4, s4
	v_cmp_o_f32_e32 vcc, v21, v21
	v_mov_b32_e32 v5, 0x7fc0
	v_cndmask_b32_sdwa v4, v5, v4, vcc dst_sel:DWORD dst_unused:UNUSED_PAD src0_sel:DWORD src1_sel:WORD_1
	global_store_dword v[1:2], v4, off
	s_mov_b64 s[4:5], 0
	s_mov_b64 s[10:11], -1
.LBB21_634:
	s_and_b64 vcc, exec, s[12:13]
	s_cbranch_vccz .LBB21_639
; %bb.635:
	s_cmp_eq_u32 s18, 44
	s_mov_b64 s[4:5], -1
	s_cbranch_scc0 .LBB21_639
; %bb.636:
	v_bfe_u32 v4, v21, 23, 8
	s_movk_i32 s4, 0xff
	v_cmp_ne_u32_e32 vcc, s4, v4
	v_mov_b32_e32 v5, 0xff
	s_and_saveexec_b64 s[10:11], vcc
; %bb.637:
	s_mov_b32 s4, 0x3fffff
	v_and_b32_e32 v6, 0x400000, v21
	v_and_or_b32 v4, v21, s4, v4
	v_cmp_ne_u32_e32 vcc, 0, v6
	v_cmp_ne_u32_e64 s[4:5], 0, v4
	s_and_b64 s[4:5], vcc, s[4:5]
	v_lshrrev_b32_e32 v5, 23, v21
	v_cndmask_b32_e64 v4, 0, 1, s[4:5]
	v_add_u32_e32 v5, v5, v4
; %bb.638:
	s_or_b64 exec, exec, s[10:11]
	s_mov_b64 s[4:5], 0
	s_mov_b64 s[10:11], -1
	global_store_byte v[1:2], v5, off
.LBB21_639:
	s_mov_b64 s[12:13], 0
.LBB21_640:
	s_and_b64 vcc, exec, s[12:13]
	s_cbranch_vccz .LBB21_643
; %bb.641:
	s_cmp_eq_u32 s18, 29
	s_mov_b64 s[4:5], -1
	s_cbranch_scc0 .LBB21_643
; %bb.642:
	v_trunc_f32_e32 v4, v21
	v_mul_f32_e32 v5, 0x2f800000, v4
	v_floor_f32_e32 v6, v5
	v_fmac_f32_e32 v4, 0xcf800000, v6
	v_cvt_u32_f32_e32 v5, v6
	v_cvt_u32_f32_e32 v4, v4
	s_mov_b64 s[4:5], 0
	s_mov_b64 s[10:11], -1
	global_store_dwordx2 v[1:2], v[4:5], off
.LBB21_643:
	s_mov_b64 s[12:13], 0
.LBB21_644:
	s_and_b64 vcc, exec, s[12:13]
	s_cbranch_vccz .LBB21_660
; %bb.645:
	s_cmp_lt_i32 s18, 27
	s_mov_b64 s[10:11], -1
	s_cbranch_scc1 .LBB21_651
; %bb.646:
	v_cvt_u32_f32_e32 v4, v21
	s_cmp_gt_i32 s18, 27
	s_cbranch_scc0 .LBB21_648
; %bb.647:
	s_mov_b64 s[10:11], 0
	global_store_dword v[1:2], v4, off
.LBB21_648:
	s_andn2_b64 vcc, exec, s[10:11]
	s_cbranch_vccnz .LBB21_650
; %bb.649:
	global_store_short v[1:2], v4, off
.LBB21_650:
	s_mov_b64 s[10:11], 0
.LBB21_651:
	s_andn2_b64 vcc, exec, s[10:11]
	s_cbranch_vccnz .LBB21_659
; %bb.652:
	v_and_b32_e32 v4, 0x7fffffff, v21
	s_mov_b32 s10, 0x43800000
	v_cmp_gt_u32_e32 vcc, s10, v4
	v_mov_b32_e32 v5, 0x80
	s_and_saveexec_b64 s[10:11], vcc
	s_cbranch_execz .LBB21_658
; %bb.653:
	s_mov_b32 s12, 0x3bffffff
	v_cmp_lt_u32_e32 vcc, s12, v4
	s_mov_b64 s[12:13], 0
                                        ; implicit-def: $vgpr4
	s_and_saveexec_b64 s[14:15], vcc
	s_xor_b64 s[14:15], exec, s[14:15]
	s_cbranch_execz .LBB21_990
; %bb.654:
	v_bfe_u32 v4, v21, 20, 1
	s_mov_b32 s19, 0x487ffff
	v_add3_u32 v4, v21, v4, s19
	s_mov_b64 s[12:13], exec
	v_lshrrev_b32_e32 v4, 20, v4
	s_andn2_saveexec_b64 s[14:15], s[14:15]
	s_cbranch_execnz .LBB21_991
.LBB21_655:
	s_or_b64 exec, exec, s[14:15]
	v_mov_b32_e32 v5, 0
	s_and_saveexec_b64 s[14:15], s[12:13]
.LBB21_656:
	v_lshrrev_b32_e32 v5, 24, v21
	s_movk_i32 s12, 0x80
	v_and_or_b32 v5, v5, s12, v4
.LBB21_657:
	s_or_b64 exec, exec, s[14:15]
.LBB21_658:
	s_or_b64 exec, exec, s[10:11]
	global_store_byte v[1:2], v5, off
.LBB21_659:
	s_mov_b64 s[10:11], -1
.LBB21_660:
	s_mov_b64 s[12:13], 0
.LBB21_661:
	s_and_b64 vcc, exec, s[12:13]
	s_cbranch_vccz .LBB21_701
; %bb.662:
	s_cmp_gt_i32 s18, 22
	s_mov_b64 s[8:9], -1
	s_cbranch_scc0 .LBB21_694
; %bb.663:
	s_cmp_lt_i32 s18, 24
	s_cbranch_scc1 .LBB21_683
; %bb.664:
	s_cmp_gt_i32 s18, 24
	s_cbranch_scc0 .LBB21_672
; %bb.665:
	v_and_b32_e32 v4, 0x7fffffff, v21
	s_mov_b32 s8, 0x47800000
	v_cmp_gt_u32_e32 vcc, s8, v4
	v_mov_b32_e32 v5, 0x80
	s_and_saveexec_b64 s[8:9], vcc
	s_cbranch_execz .LBB21_671
; %bb.666:
	s_mov_b32 s10, 0x37ffffff
	v_cmp_lt_u32_e32 vcc, s10, v4
	s_mov_b64 s[10:11], 0
                                        ; implicit-def: $vgpr4
	s_and_saveexec_b64 s[12:13], vcc
	s_xor_b64 s[12:13], exec, s[12:13]
	s_cbranch_execz .LBB21_993
; %bb.667:
	v_bfe_u32 v4, v21, 21, 1
	s_mov_b32 s14, 0x88fffff
	v_add3_u32 v4, v21, v4, s14
	s_mov_b64 s[10:11], exec
	v_lshrrev_b32_e32 v4, 21, v4
	s_andn2_saveexec_b64 s[12:13], s[12:13]
	s_cbranch_execnz .LBB21_994
.LBB21_668:
	s_or_b64 exec, exec, s[12:13]
	v_mov_b32_e32 v5, 0
	s_and_saveexec_b64 s[12:13], s[10:11]
.LBB21_669:
	v_lshrrev_b32_e32 v5, 24, v21
	s_movk_i32 s10, 0x80
	v_and_or_b32 v5, v5, s10, v4
.LBB21_670:
	s_or_b64 exec, exec, s[12:13]
.LBB21_671:
	s_or_b64 exec, exec, s[8:9]
	s_mov_b64 s[8:9], 0
	global_store_byte v[1:2], v5, off
.LBB21_672:
	s_and_b64 vcc, exec, s[8:9]
	s_cbranch_vccz .LBB21_682
; %bb.673:
	v_and_b32_e32 v5, 0x7fffffff, v21
	s_mov_b32 s8, 0x43f00000
	v_cmp_gt_u32_e32 vcc, s8, v5
                                        ; implicit-def: $vgpr4
	s_and_saveexec_b64 s[8:9], vcc
	s_xor_b64 s[8:9], exec, s[8:9]
	s_cbranch_execz .LBB21_679
; %bb.674:
	s_mov_b32 s10, 0x3c7fffff
	v_cmp_lt_u32_e32 vcc, s10, v5
                                        ; implicit-def: $vgpr4
	s_and_saveexec_b64 s[10:11], vcc
	s_xor_b64 s[10:11], exec, s[10:11]
; %bb.675:
	v_bfe_u32 v4, v21, 20, 1
	s_mov_b32 s12, 0x407ffff
	v_add3_u32 v4, v21, v4, s12
	v_lshrrev_b32_e32 v5, 20, v4
	v_and_b32_e32 v4, 0xff00000, v4
	s_mov_b32 s12, 0x7f00000
	v_mov_b32_e32 v6, 0x7e
	v_cmp_ne_u32_e32 vcc, s12, v4
	v_cndmask_b32_e32 v4, v6, v5, vcc
; %bb.676:
	s_andn2_saveexec_b64 s[10:11], s[10:11]
; %bb.677:
	s_mov_b32 s12, 0x46800000
	v_add_f32_e64 v4, |v21|, s12
; %bb.678:
	s_or_b64 exec, exec, s[10:11]
                                        ; implicit-def: $vgpr5
.LBB21_679:
	s_andn2_saveexec_b64 s[8:9], s[8:9]
; %bb.680:
	s_mov_b32 s10, 0x7f800000
	v_mov_b32_e32 v4, 0x7e
	v_mov_b32_e32 v6, 0x7f
	v_cmp_lt_u32_e32 vcc, s10, v5
	v_cndmask_b32_e32 v4, v4, v6, vcc
; %bb.681:
	s_or_b64 exec, exec, s[8:9]
	v_lshrrev_b32_e32 v5, 24, v21
	s_movk_i32 s8, 0x80
	v_and_or_b32 v4, v5, s8, v4
	global_store_byte v[1:2], v4, off
.LBB21_682:
	s_mov_b64 s[8:9], 0
.LBB21_683:
	s_andn2_b64 vcc, exec, s[8:9]
	s_cbranch_vccnz .LBB21_693
; %bb.684:
	v_and_b32_e32 v5, 0x7fffffff, v21
	s_mov_b32 s8, 0x47800000
	v_cmp_gt_u32_e32 vcc, s8, v5
                                        ; implicit-def: $vgpr4
	s_and_saveexec_b64 s[8:9], vcc
	s_xor_b64 s[8:9], exec, s[8:9]
	s_cbranch_execz .LBB21_690
; %bb.685:
	s_mov_b32 s10, 0x387fffff
	v_cmp_lt_u32_e32 vcc, s10, v5
                                        ; implicit-def: $vgpr4
	s_and_saveexec_b64 s[10:11], vcc
	s_xor_b64 s[10:11], exec, s[10:11]
; %bb.686:
	v_bfe_u32 v4, v21, 21, 1
	s_mov_b32 s12, 0x80fffff
	v_add3_u32 v4, v21, v4, s12
	v_lshrrev_b32_e32 v4, 21, v4
; %bb.687:
	s_andn2_saveexec_b64 s[10:11], s[10:11]
; %bb.688:
	s_mov_b32 s12, 0x43000000
	v_add_f32_e64 v4, |v21|, s12
; %bb.689:
	s_or_b64 exec, exec, s[10:11]
                                        ; implicit-def: $vgpr5
.LBB21_690:
	s_andn2_saveexec_b64 s[8:9], s[8:9]
; %bb.691:
	s_mov_b32 s10, 0x7f800000
	v_mov_b32_e32 v4, 0x7c
	v_mov_b32_e32 v6, 0x7f
	v_cmp_lt_u32_e32 vcc, s10, v5
	v_cndmask_b32_e32 v4, v4, v6, vcc
; %bb.692:
	s_or_b64 exec, exec, s[8:9]
	v_lshrrev_b32_e32 v5, 24, v21
	s_movk_i32 s8, 0x80
	v_and_or_b32 v4, v5, s8, v4
	global_store_byte v[1:2], v4, off
.LBB21_693:
	s_mov_b64 s[8:9], 0
	s_mov_b64 s[10:11], -1
.LBB21_694:
	s_andn2_b64 vcc, exec, s[8:9]
	s_mov_b64 s[8:9], 0
	s_cbranch_vccnz .LBB21_701
; %bb.695:
	s_cmp_gt_i32 s18, 14
	s_mov_b64 s[12:13], -1
	s_cbranch_scc0 .LBB21_699
; %bb.696:
	s_cmp_eq_u32 s18, 15
	s_mov_b64 s[4:5], -1
	s_cbranch_scc0 .LBB21_698
; %bb.697:
	v_bfe_u32 v4, v21, 16, 1
	s_movk_i32 s4, 0x7fff
	v_add3_u32 v4, v21, v4, s4
	v_cmp_o_f32_e32 vcc, v21, v21
	v_mov_b32_e32 v5, 0x7fc0
	v_cndmask_b32_sdwa v4, v5, v4, vcc dst_sel:DWORD dst_unused:UNUSED_PAD src0_sel:DWORD src1_sel:WORD_1
	global_store_short v[1:2], v4, off
	s_mov_b64 s[4:5], 0
	s_mov_b64 s[10:11], -1
.LBB21_698:
	s_mov_b64 s[12:13], 0
.LBB21_699:
	s_and_b64 vcc, exec, s[12:13]
	s_cbranch_vccz .LBB21_701
; %bb.700:
	s_cmp_lg_u32 s18, 11
	s_mov_b64 s[8:9], -1
	s_cselect_b64 s[4:5], -1, 0
.LBB21_701:
	s_and_b64 vcc, exec, s[4:5]
	s_cbranch_vccnz .LBB21_992
; %bb.702:
	s_andn2_b64 vcc, exec, s[8:9]
	s_cbranch_vccnz .LBB21_704
.LBB21_703:
	v_cmp_neq_f32_e32 vcc, 0, v21
	v_cndmask_b32_e64 v4, 0, 1, vcc
	s_mov_b64 s[10:11], -1
	global_store_byte v[1:2], v4, off
.LBB21_704:
.LBB21_705:
	s_andn2_b64 vcc, exec, s[10:11]
	s_cbranch_vccz .LBB21_745
	s_branch .LBB21_939
.LBB21_706:
	s_mov_b64 s[10:11], 0
	s_cbranch_execz .LBB21_705
; %bb.707:
	s_and_b32 s8, 0xffff, s16
	s_cmp_lt_i32 s8, 5
	s_mov_b64 s[4:5], -1
	s_cbranch_scc1 .LBB21_728
; %bb.708:
	s_cmp_lt_i32 s8, 8
	s_cbranch_scc1 .LBB21_718
; %bb.709:
	s_cmp_lt_i32 s8, 9
	s_cbranch_scc1 .LBB21_715
; %bb.710:
	s_cmp_gt_i32 s8, 9
	s_cbranch_scc0 .LBB21_712
; %bb.711:
	v_cvt_f64_f32_e32 v[4:5], v21
	v_mov_b32_e32 v6, 0
	v_mov_b32_e32 v7, v6
	s_mov_b64 s[4:5], 0
	global_store_dwordx4 v[1:2], v[4:7], off
.LBB21_712:
	s_andn2_b64 vcc, exec, s[4:5]
	s_cbranch_vccnz .LBB21_714
; %bb.713:
	v_mov_b32_e32 v22, 0
	global_store_dwordx2 v[1:2], v[21:22], off
.LBB21_714:
	s_mov_b64 s[4:5], 0
.LBB21_715:
	s_andn2_b64 vcc, exec, s[4:5]
	s_cbranch_vccnz .LBB21_717
; %bb.716:
	v_cvt_f16_f32_e32 v4, v21
	global_store_dword v[1:2], v4, off
.LBB21_717:
	s_mov_b64 s[4:5], 0
.LBB21_718:
	s_andn2_b64 vcc, exec, s[4:5]
	s_cbranch_vccnz .LBB21_727
; %bb.719:
	s_cmp_lt_i32 s8, 6
	s_mov_b64 s[4:5], -1
	s_cbranch_scc1 .LBB21_725
; %bb.720:
	s_cmp_gt_i32 s8, 6
	s_cbranch_scc0 .LBB21_722
; %bb.721:
	v_cvt_f64_f32_e32 v[4:5], v21
	s_mov_b64 s[4:5], 0
	global_store_dwordx2 v[1:2], v[4:5], off
.LBB21_722:
	s_andn2_b64 vcc, exec, s[4:5]
	s_cbranch_vccnz .LBB21_724
; %bb.723:
	global_store_dword v[1:2], v21, off
.LBB21_724:
	s_mov_b64 s[4:5], 0
.LBB21_725:
	s_andn2_b64 vcc, exec, s[4:5]
	s_cbranch_vccnz .LBB21_727
; %bb.726:
	v_cvt_f16_f32_e32 v4, v21
	global_store_short v[1:2], v4, off
.LBB21_727:
	s_mov_b64 s[4:5], 0
.LBB21_728:
	s_andn2_b64 vcc, exec, s[4:5]
	s_cbranch_vccnz .LBB21_744
; %bb.729:
	s_cmp_lt_i32 s8, 2
	s_mov_b64 s[4:5], -1
	s_cbranch_scc1 .LBB21_739
; %bb.730:
	s_cmp_lt_i32 s8, 3
	s_cbranch_scc1 .LBB21_736
; %bb.731:
	s_cmp_gt_i32 s8, 3
	s_cbranch_scc0 .LBB21_733
; %bb.732:
	v_trunc_f32_e32 v4, v21
	s_mov_b32 s4, 0x2f800000
	v_mul_f32_e64 v5, |v4|, s4
	v_floor_f32_e32 v5, v5
	s_mov_b32 s4, 0xcf800000
	v_cvt_u32_f32_e32 v6, v5
	v_fma_f32 v5, v5, s4, |v4|
	v_cvt_u32_f32_e32 v5, v5
	v_ashrrev_i32_e32 v7, 31, v4
	v_xor_b32_e32 v6, v6, v7
	s_mov_b64 s[4:5], 0
	v_xor_b32_e32 v4, v5, v7
	v_sub_co_u32_e32 v4, vcc, v4, v7
	v_subb_co_u32_e32 v5, vcc, v6, v7, vcc
	global_store_dwordx2 v[1:2], v[4:5], off
.LBB21_733:
	s_andn2_b64 vcc, exec, s[4:5]
	s_cbranch_vccnz .LBB21_735
; %bb.734:
	v_cvt_i32_f32_e32 v4, v21
	global_store_dword v[1:2], v4, off
.LBB21_735:
	s_mov_b64 s[4:5], 0
.LBB21_736:
	s_andn2_b64 vcc, exec, s[4:5]
	s_cbranch_vccnz .LBB21_738
; %bb.737:
	v_cvt_i32_f32_e32 v4, v21
	global_store_short v[1:2], v4, off
.LBB21_738:
	s_mov_b64 s[4:5], 0
.LBB21_739:
	s_andn2_b64 vcc, exec, s[4:5]
	s_cbranch_vccnz .LBB21_744
; %bb.740:
	s_cmp_gt_i32 s8, 0
	s_mov_b64 s[4:5], -1
	s_cbranch_scc0 .LBB21_742
; %bb.741:
	v_cvt_i32_f32_e32 v4, v21
	s_mov_b64 s[4:5], 0
	global_store_byte v[1:2], v4, off
.LBB21_742:
	s_andn2_b64 vcc, exec, s[4:5]
	s_cbranch_vccnz .LBB21_744
; %bb.743:
	v_trunc_f32_e32 v4, v21
	s_mov_b32 s4, 0x2f800000
	v_mul_f32_e64 v5, |v4|, s4
	v_floor_f32_e32 v5, v5
	s_mov_b32 s4, 0xcf800000
	v_fma_f32 v5, v5, s4, |v4|
	v_cvt_u32_f32_e32 v5, v5
	v_ashrrev_i32_e32 v4, 31, v4
	v_xor_b32_e32 v5, v5, v4
	v_sub_u32_e32 v4, v5, v4
	global_store_byte v[1:2], v4, off
.LBB21_744:
.LBB21_745:
	v_add_u32_e32 v3, s17, v3
	v_ashrrev_i32_e32 v2, 31, v3
	v_mov_b32_e32 v4, s37
	v_add_co_u32_e32 v1, vcc, s36, v3
	s_cmp_lt_i32 s16, 11
	v_addc_co_u32_e32 v2, vcc, v4, v2, vcc
	s_cbranch_scc1 .LBB21_900
; %bb.746:
	s_and_b32 s18, 0xffff, s16
	s_mov_b64 s[12:13], -1
	s_mov_b64 s[8:9], 0
	s_cmp_gt_i32 s18, 25
	s_mov_b64 s[10:11], 0
	s_mov_b64 s[4:5], 0
	s_cbranch_scc0 .LBB21_779
; %bb.747:
	s_cmp_gt_i32 s18, 28
	s_cbranch_scc0 .LBB21_762
; %bb.748:
	s_cmp_gt_i32 s18, 43
	;; [unrolled: 3-line block ×3, first 2 shown]
	s_cbranch_scc0 .LBB21_752
; %bb.750:
	s_mov_b64 s[4:5], -1
	s_mov_b64 s[12:13], 0
	s_cmp_eq_u32 s18, 46
	s_cbranch_scc0 .LBB21_752
; %bb.751:
	v_bfe_u32 v4, v20, 16, 1
	s_movk_i32 s4, 0x7fff
	v_add3_u32 v4, v20, v4, s4
	v_cmp_o_f32_e32 vcc, v20, v20
	v_mov_b32_e32 v5, 0x7fc0
	v_cndmask_b32_sdwa v4, v5, v4, vcc dst_sel:DWORD dst_unused:UNUSED_PAD src0_sel:DWORD src1_sel:WORD_1
	global_store_dword v[1:2], v4, off
	s_mov_b64 s[4:5], 0
	s_mov_b64 s[10:11], -1
.LBB21_752:
	s_and_b64 vcc, exec, s[12:13]
	s_cbranch_vccz .LBB21_757
; %bb.753:
	s_cmp_eq_u32 s18, 44
	s_mov_b64 s[4:5], -1
	s_cbranch_scc0 .LBB21_757
; %bb.754:
	v_bfe_u32 v4, v20, 23, 8
	s_movk_i32 s4, 0xff
	v_cmp_ne_u32_e32 vcc, s4, v4
	v_mov_b32_e32 v5, 0xff
	s_and_saveexec_b64 s[10:11], vcc
; %bb.755:
	s_mov_b32 s4, 0x3fffff
	v_and_b32_e32 v6, 0x400000, v20
	v_and_or_b32 v4, v20, s4, v4
	v_cmp_ne_u32_e32 vcc, 0, v6
	v_cmp_ne_u32_e64 s[4:5], 0, v4
	s_and_b64 s[4:5], vcc, s[4:5]
	v_lshrrev_b32_e32 v5, 23, v20
	v_cndmask_b32_e64 v4, 0, 1, s[4:5]
	v_add_u32_e32 v5, v5, v4
; %bb.756:
	s_or_b64 exec, exec, s[10:11]
	s_mov_b64 s[4:5], 0
	s_mov_b64 s[10:11], -1
	global_store_byte v[1:2], v5, off
.LBB21_757:
	s_mov_b64 s[12:13], 0
.LBB21_758:
	s_and_b64 vcc, exec, s[12:13]
	s_cbranch_vccz .LBB21_761
; %bb.759:
	s_cmp_eq_u32 s18, 29
	s_mov_b64 s[4:5], -1
	s_cbranch_scc0 .LBB21_761
; %bb.760:
	v_trunc_f32_e32 v4, v20
	v_mul_f32_e32 v5, 0x2f800000, v4
	v_floor_f32_e32 v6, v5
	v_fmac_f32_e32 v4, 0xcf800000, v6
	v_cvt_u32_f32_e32 v5, v6
	v_cvt_u32_f32_e32 v4, v4
	s_mov_b64 s[4:5], 0
	s_mov_b64 s[10:11], -1
	global_store_dwordx2 v[1:2], v[4:5], off
.LBB21_761:
	s_mov_b64 s[12:13], 0
.LBB21_762:
	s_and_b64 vcc, exec, s[12:13]
	s_cbranch_vccz .LBB21_778
; %bb.763:
	s_cmp_lt_i32 s18, 27
	s_mov_b64 s[10:11], -1
	s_cbranch_scc1 .LBB21_769
; %bb.764:
	v_cvt_u32_f32_e32 v4, v20
	s_cmp_gt_i32 s18, 27
	s_cbranch_scc0 .LBB21_766
; %bb.765:
	s_mov_b64 s[10:11], 0
	global_store_dword v[1:2], v4, off
.LBB21_766:
	s_andn2_b64 vcc, exec, s[10:11]
	s_cbranch_vccnz .LBB21_768
; %bb.767:
	global_store_short v[1:2], v4, off
.LBB21_768:
	s_mov_b64 s[10:11], 0
.LBB21_769:
	s_andn2_b64 vcc, exec, s[10:11]
	s_cbranch_vccnz .LBB21_777
; %bb.770:
	v_and_b32_e32 v4, 0x7fffffff, v20
	s_mov_b32 s10, 0x43800000
	v_cmp_gt_u32_e32 vcc, s10, v4
	v_mov_b32_e32 v5, 0x80
	s_and_saveexec_b64 s[10:11], vcc
	s_cbranch_execz .LBB21_776
; %bb.771:
	s_mov_b32 s12, 0x3bffffff
	v_cmp_lt_u32_e32 vcc, s12, v4
	s_mov_b64 s[12:13], 0
                                        ; implicit-def: $vgpr4
	s_and_saveexec_b64 s[14:15], vcc
	s_xor_b64 s[14:15], exec, s[14:15]
	s_cbranch_execz .LBB21_995
; %bb.772:
	v_bfe_u32 v4, v20, 20, 1
	s_mov_b32 s19, 0x487ffff
	v_add3_u32 v4, v20, v4, s19
	s_mov_b64 s[12:13], exec
	v_lshrrev_b32_e32 v4, 20, v4
	s_andn2_saveexec_b64 s[14:15], s[14:15]
	s_cbranch_execnz .LBB21_996
.LBB21_773:
	s_or_b64 exec, exec, s[14:15]
	v_mov_b32_e32 v5, 0
	s_and_saveexec_b64 s[14:15], s[12:13]
.LBB21_774:
	v_lshrrev_b32_e32 v5, 24, v20
	s_movk_i32 s12, 0x80
	v_and_or_b32 v5, v5, s12, v4
.LBB21_775:
	s_or_b64 exec, exec, s[14:15]
.LBB21_776:
	s_or_b64 exec, exec, s[10:11]
	global_store_byte v[1:2], v5, off
.LBB21_777:
	s_mov_b64 s[10:11], -1
.LBB21_778:
	s_mov_b64 s[12:13], 0
.LBB21_779:
	s_and_b64 vcc, exec, s[12:13]
	s_cbranch_vccz .LBB21_819
; %bb.780:
	s_cmp_gt_i32 s18, 22
	s_mov_b64 s[8:9], -1
	s_cbranch_scc0 .LBB21_812
; %bb.781:
	s_cmp_lt_i32 s18, 24
	s_cbranch_scc1 .LBB21_801
; %bb.782:
	s_cmp_gt_i32 s18, 24
	s_cbranch_scc0 .LBB21_790
; %bb.783:
	v_and_b32_e32 v4, 0x7fffffff, v20
	s_mov_b32 s8, 0x47800000
	v_cmp_gt_u32_e32 vcc, s8, v4
	v_mov_b32_e32 v5, 0x80
	s_and_saveexec_b64 s[8:9], vcc
	s_cbranch_execz .LBB21_789
; %bb.784:
	s_mov_b32 s10, 0x37ffffff
	v_cmp_lt_u32_e32 vcc, s10, v4
	s_mov_b64 s[10:11], 0
                                        ; implicit-def: $vgpr4
	s_and_saveexec_b64 s[12:13], vcc
	s_xor_b64 s[12:13], exec, s[12:13]
	s_cbranch_execz .LBB21_1000
; %bb.785:
	v_bfe_u32 v4, v20, 21, 1
	s_mov_b32 s14, 0x88fffff
	v_add3_u32 v4, v20, v4, s14
	s_mov_b64 s[10:11], exec
	v_lshrrev_b32_e32 v4, 21, v4
	s_andn2_saveexec_b64 s[12:13], s[12:13]
	s_cbranch_execnz .LBB21_1001
.LBB21_786:
	s_or_b64 exec, exec, s[12:13]
	v_mov_b32_e32 v5, 0
	s_and_saveexec_b64 s[12:13], s[10:11]
.LBB21_787:
	v_lshrrev_b32_e32 v5, 24, v20
	s_movk_i32 s10, 0x80
	v_and_or_b32 v5, v5, s10, v4
.LBB21_788:
	s_or_b64 exec, exec, s[12:13]
.LBB21_789:
	s_or_b64 exec, exec, s[8:9]
	s_mov_b64 s[8:9], 0
	global_store_byte v[1:2], v5, off
.LBB21_790:
	s_and_b64 vcc, exec, s[8:9]
	s_cbranch_vccz .LBB21_800
; %bb.791:
	v_and_b32_e32 v5, 0x7fffffff, v20
	s_mov_b32 s8, 0x43f00000
	v_cmp_gt_u32_e32 vcc, s8, v5
                                        ; implicit-def: $vgpr4
	s_and_saveexec_b64 s[8:9], vcc
	s_xor_b64 s[8:9], exec, s[8:9]
	s_cbranch_execz .LBB21_797
; %bb.792:
	s_mov_b32 s10, 0x3c7fffff
	v_cmp_lt_u32_e32 vcc, s10, v5
                                        ; implicit-def: $vgpr4
	s_and_saveexec_b64 s[10:11], vcc
	s_xor_b64 s[10:11], exec, s[10:11]
; %bb.793:
	v_bfe_u32 v4, v20, 20, 1
	s_mov_b32 s12, 0x407ffff
	v_add3_u32 v4, v20, v4, s12
	v_lshrrev_b32_e32 v5, 20, v4
	v_and_b32_e32 v4, 0xff00000, v4
	s_mov_b32 s12, 0x7f00000
	v_mov_b32_e32 v6, 0x7e
	v_cmp_ne_u32_e32 vcc, s12, v4
	v_cndmask_b32_e32 v4, v6, v5, vcc
; %bb.794:
	s_andn2_saveexec_b64 s[10:11], s[10:11]
; %bb.795:
	s_mov_b32 s12, 0x46800000
	v_add_f32_e64 v4, |v20|, s12
; %bb.796:
	s_or_b64 exec, exec, s[10:11]
                                        ; implicit-def: $vgpr5
.LBB21_797:
	s_andn2_saveexec_b64 s[8:9], s[8:9]
; %bb.798:
	s_mov_b32 s10, 0x7f800000
	v_mov_b32_e32 v4, 0x7e
	v_mov_b32_e32 v6, 0x7f
	v_cmp_lt_u32_e32 vcc, s10, v5
	v_cndmask_b32_e32 v4, v4, v6, vcc
; %bb.799:
	s_or_b64 exec, exec, s[8:9]
	v_lshrrev_b32_e32 v5, 24, v20
	s_movk_i32 s8, 0x80
	v_and_or_b32 v4, v5, s8, v4
	global_store_byte v[1:2], v4, off
.LBB21_800:
	s_mov_b64 s[8:9], 0
.LBB21_801:
	s_andn2_b64 vcc, exec, s[8:9]
	s_cbranch_vccnz .LBB21_811
; %bb.802:
	v_and_b32_e32 v5, 0x7fffffff, v20
	s_mov_b32 s8, 0x47800000
	v_cmp_gt_u32_e32 vcc, s8, v5
                                        ; implicit-def: $vgpr4
	s_and_saveexec_b64 s[8:9], vcc
	s_xor_b64 s[8:9], exec, s[8:9]
	s_cbranch_execz .LBB21_808
; %bb.803:
	s_mov_b32 s10, 0x387fffff
	v_cmp_lt_u32_e32 vcc, s10, v5
                                        ; implicit-def: $vgpr4
	s_and_saveexec_b64 s[10:11], vcc
	s_xor_b64 s[10:11], exec, s[10:11]
; %bb.804:
	v_bfe_u32 v4, v20, 21, 1
	s_mov_b32 s12, 0x80fffff
	v_add3_u32 v4, v20, v4, s12
	v_lshrrev_b32_e32 v4, 21, v4
; %bb.805:
	s_andn2_saveexec_b64 s[10:11], s[10:11]
; %bb.806:
	s_mov_b32 s12, 0x43000000
	v_add_f32_e64 v4, |v20|, s12
; %bb.807:
	s_or_b64 exec, exec, s[10:11]
                                        ; implicit-def: $vgpr5
.LBB21_808:
	s_andn2_saveexec_b64 s[8:9], s[8:9]
; %bb.809:
	s_mov_b32 s10, 0x7f800000
	v_mov_b32_e32 v4, 0x7c
	v_mov_b32_e32 v6, 0x7f
	v_cmp_lt_u32_e32 vcc, s10, v5
	v_cndmask_b32_e32 v4, v4, v6, vcc
; %bb.810:
	s_or_b64 exec, exec, s[8:9]
	v_lshrrev_b32_e32 v5, 24, v20
	s_movk_i32 s8, 0x80
	v_and_or_b32 v4, v5, s8, v4
	global_store_byte v[1:2], v4, off
.LBB21_811:
	s_mov_b64 s[8:9], 0
	s_mov_b64 s[10:11], -1
.LBB21_812:
	s_andn2_b64 vcc, exec, s[8:9]
	s_mov_b64 s[8:9], 0
	s_cbranch_vccnz .LBB21_819
; %bb.813:
	s_cmp_gt_i32 s18, 14
	s_mov_b64 s[12:13], -1
	s_cbranch_scc0 .LBB21_817
; %bb.814:
	s_cmp_eq_u32 s18, 15
	s_mov_b64 s[4:5], -1
	s_cbranch_scc0 .LBB21_816
; %bb.815:
	v_bfe_u32 v4, v20, 16, 1
	s_movk_i32 s4, 0x7fff
	v_add3_u32 v4, v20, v4, s4
	v_cmp_o_f32_e32 vcc, v20, v20
	v_mov_b32_e32 v5, 0x7fc0
	v_cndmask_b32_sdwa v4, v5, v4, vcc dst_sel:DWORD dst_unused:UNUSED_PAD src0_sel:DWORD src1_sel:WORD_1
	global_store_short v[1:2], v4, off
	s_mov_b64 s[4:5], 0
	s_mov_b64 s[10:11], -1
.LBB21_816:
	s_mov_b64 s[12:13], 0
.LBB21_817:
	s_and_b64 vcc, exec, s[12:13]
	s_cbranch_vccz .LBB21_819
; %bb.818:
	s_cmp_lg_u32 s18, 11
	s_mov_b64 s[8:9], -1
	s_cselect_b64 s[4:5], -1, 0
.LBB21_819:
	s_and_b64 vcc, exec, s[4:5]
	s_cbranch_vccnz .LBB21_997
; %bb.820:
	s_andn2_b64 vcc, exec, s[8:9]
	s_cbranch_vccnz .LBB21_822
.LBB21_821:
	v_cmp_neq_f32_e32 vcc, 0, v20
	v_cndmask_b32_e64 v4, 0, 1, vcc
	s_mov_b64 s[10:11], -1
	global_store_byte v[1:2], v4, off
.LBB21_822:
.LBB21_823:
	s_andn2_b64 vcc, exec, s[10:11]
	s_cbranch_vccnz .LBB21_939
.LBB21_824:
	v_add_u32_e32 v1, s17, v3
	v_ashrrev_i32_e32 v3, 31, v1
	v_mov_b32_e32 v4, s37
	v_add_co_u32_e32 v2, vcc, s36, v1
	s_cmp_lt_i32 s16, 11
	v_addc_co_u32_e32 v3, vcc, v4, v3, vcc
	s_cbranch_scc1 .LBB21_984
; %bb.825:
	s_and_b32 s17, 0xffff, s16
	s_mov_b64 s[10:11], -1
	s_mov_b64 s[8:9], 0
	s_cmp_gt_i32 s17, 25
	s_mov_b64 s[4:5], 0
	s_cbranch_scc0 .LBB21_858
; %bb.826:
	s_cmp_gt_i32 s17, 28
	s_cbranch_scc0 .LBB21_842
; %bb.827:
	s_cmp_gt_i32 s17, 43
	;; [unrolled: 3-line block ×3, first 2 shown]
	s_cbranch_scc0 .LBB21_832
; %bb.829:
	s_cmp_eq_u32 s17, 46
	s_mov_b64 s[4:5], -1
	s_cbranch_scc0 .LBB21_831
; %bb.830:
	v_bfe_u32 v1, v0, 16, 1
	s_movk_i32 s4, 0x7fff
	v_add3_u32 v1, v0, v1, s4
	v_cmp_o_f32_e32 vcc, v0, v0
	v_mov_b32_e32 v4, 0x7fc0
	v_cndmask_b32_sdwa v1, v4, v1, vcc dst_sel:DWORD dst_unused:UNUSED_PAD src0_sel:DWORD src1_sel:WORD_1
	global_store_dword v[2:3], v1, off
	s_mov_b64 s[4:5], 0
.LBB21_831:
	s_mov_b64 s[10:11], 0
.LBB21_832:
	s_and_b64 vcc, exec, s[10:11]
	s_cbranch_vccz .LBB21_837
; %bb.833:
	s_cmp_eq_u32 s17, 44
	s_mov_b64 s[4:5], -1
	s_cbranch_scc0 .LBB21_837
; %bb.834:
	v_bfe_u32 v1, v0, 23, 8
	s_movk_i32 s4, 0xff
	v_cmp_ne_u32_e32 vcc, s4, v1
	v_mov_b32_e32 v4, 0xff
	s_and_saveexec_b64 s[10:11], vcc
; %bb.835:
	s_mov_b32 s4, 0x3fffff
	v_and_b32_e32 v5, 0x400000, v0
	v_and_or_b32 v1, v0, s4, v1
	v_cmp_ne_u32_e32 vcc, 0, v5
	v_cmp_ne_u32_e64 s[4:5], 0, v1
	s_and_b64 s[4:5], vcc, s[4:5]
	v_lshrrev_b32_e32 v4, 23, v0
	v_cndmask_b32_e64 v1, 0, 1, s[4:5]
	v_add_u32_e32 v4, v4, v1
; %bb.836:
	s_or_b64 exec, exec, s[10:11]
	s_mov_b64 s[4:5], 0
	global_store_byte v[2:3], v4, off
.LBB21_837:
	s_mov_b64 s[10:11], 0
.LBB21_838:
	s_and_b64 vcc, exec, s[10:11]
	s_cbranch_vccz .LBB21_841
; %bb.839:
	s_cmp_eq_u32 s17, 29
	s_mov_b64 s[4:5], -1
	s_cbranch_scc0 .LBB21_841
; %bb.840:
	v_trunc_f32_e32 v1, v0
	v_mul_f32_e32 v4, 0x2f800000, v1
	v_floor_f32_e32 v4, v4
	v_fmac_f32_e32 v1, 0xcf800000, v4
	v_cvt_u32_f32_e32 v5, v4
	v_cvt_u32_f32_e32 v4, v1
	s_mov_b64 s[4:5], 0
	global_store_dwordx2 v[2:3], v[4:5], off
.LBB21_841:
	s_mov_b64 s[10:11], 0
.LBB21_842:
	s_and_b64 vcc, exec, s[10:11]
	s_cbranch_vccz .LBB21_857
; %bb.843:
	s_cmp_lt_i32 s17, 27
	s_mov_b64 s[10:11], -1
	s_cbranch_scc1 .LBB21_849
; %bb.844:
	v_cvt_u32_f32_e32 v1, v0
	s_cmp_gt_i32 s17, 27
	s_cbranch_scc0 .LBB21_846
; %bb.845:
	global_store_dword v[2:3], v1, off
	s_mov_b64 s[10:11], 0
.LBB21_846:
	s_andn2_b64 vcc, exec, s[10:11]
	s_cbranch_vccnz .LBB21_848
; %bb.847:
	global_store_short v[2:3], v1, off
.LBB21_848:
	s_mov_b64 s[10:11], 0
.LBB21_849:
	s_andn2_b64 vcc, exec, s[10:11]
	s_cbranch_vccnz .LBB21_857
; %bb.850:
	v_and_b32_e32 v1, 0x7fffffff, v0
	s_mov_b32 s10, 0x43800000
	v_cmp_gt_u32_e32 vcc, s10, v1
	v_mov_b32_e32 v4, 0x80
	s_and_saveexec_b64 s[10:11], vcc
	s_cbranch_execz .LBB21_856
; %bb.851:
	s_mov_b32 s12, 0x3bffffff
	v_cmp_lt_u32_e32 vcc, s12, v1
	s_mov_b64 s[12:13], 0
                                        ; implicit-def: $vgpr1
	s_and_saveexec_b64 s[14:15], vcc
	s_xor_b64 s[14:15], exec, s[14:15]
	s_cbranch_execz .LBB21_1002
; %bb.852:
	v_bfe_u32 v1, v0, 20, 1
	s_mov_b32 s18, 0x487ffff
	v_add3_u32 v1, v0, v1, s18
	s_mov_b64 s[12:13], exec
	v_lshrrev_b32_e32 v1, 20, v1
	s_andn2_saveexec_b64 s[14:15], s[14:15]
	s_cbranch_execnz .LBB21_1003
.LBB21_853:
	s_or_b64 exec, exec, s[14:15]
	v_mov_b32_e32 v4, 0
	s_and_saveexec_b64 s[14:15], s[12:13]
.LBB21_854:
	v_lshrrev_b32_e32 v4, 24, v0
	s_movk_i32 s12, 0x80
	v_and_or_b32 v4, v4, s12, v1
.LBB21_855:
	s_or_b64 exec, exec, s[14:15]
.LBB21_856:
	s_or_b64 exec, exec, s[10:11]
	global_store_byte v[2:3], v4, off
.LBB21_857:
	s_mov_b64 s[10:11], 0
.LBB21_858:
	s_and_b64 vcc, exec, s[10:11]
	s_cbranch_vccz .LBB21_898
; %bb.859:
	s_cmp_gt_i32 s17, 22
	s_mov_b64 s[8:9], -1
	s_cbranch_scc0 .LBB21_891
; %bb.860:
	s_cmp_lt_i32 s17, 24
	s_cbranch_scc1 .LBB21_880
; %bb.861:
	s_cmp_gt_i32 s17, 24
	s_cbranch_scc0 .LBB21_869
; %bb.862:
	v_and_b32_e32 v1, 0x7fffffff, v0
	s_mov_b32 s8, 0x47800000
	v_cmp_gt_u32_e32 vcc, s8, v1
	v_mov_b32_e32 v4, 0x80
	s_and_saveexec_b64 s[8:9], vcc
	s_cbranch_execz .LBB21_868
; %bb.863:
	s_mov_b32 s10, 0x37ffffff
	v_cmp_lt_u32_e32 vcc, s10, v1
	s_mov_b64 s[10:11], 0
                                        ; implicit-def: $vgpr1
	s_and_saveexec_b64 s[12:13], vcc
	s_xor_b64 s[12:13], exec, s[12:13]
	s_cbranch_execz .LBB21_1009
; %bb.864:
	v_bfe_u32 v1, v0, 21, 1
	s_mov_b32 s14, 0x88fffff
	v_add3_u32 v1, v0, v1, s14
	s_mov_b64 s[10:11], exec
	v_lshrrev_b32_e32 v1, 21, v1
	s_andn2_saveexec_b64 s[12:13], s[12:13]
	s_cbranch_execnz .LBB21_1010
.LBB21_865:
	s_or_b64 exec, exec, s[12:13]
	v_mov_b32_e32 v4, 0
	s_and_saveexec_b64 s[12:13], s[10:11]
.LBB21_866:
	v_lshrrev_b32_e32 v4, 24, v0
	s_movk_i32 s10, 0x80
	v_and_or_b32 v4, v4, s10, v1
.LBB21_867:
	s_or_b64 exec, exec, s[12:13]
.LBB21_868:
	s_or_b64 exec, exec, s[8:9]
	s_mov_b64 s[8:9], 0
	global_store_byte v[2:3], v4, off
.LBB21_869:
	s_and_b64 vcc, exec, s[8:9]
	s_cbranch_vccz .LBB21_879
; %bb.870:
	v_and_b32_e32 v4, 0x7fffffff, v0
	s_mov_b32 s8, 0x43f00000
	v_cmp_gt_u32_e32 vcc, s8, v4
                                        ; implicit-def: $vgpr1
	s_and_saveexec_b64 s[8:9], vcc
	s_xor_b64 s[8:9], exec, s[8:9]
	s_cbranch_execz .LBB21_876
; %bb.871:
	s_mov_b32 s10, 0x3c7fffff
	v_cmp_lt_u32_e32 vcc, s10, v4
                                        ; implicit-def: $vgpr1
	s_and_saveexec_b64 s[10:11], vcc
	s_xor_b64 s[10:11], exec, s[10:11]
; %bb.872:
	v_bfe_u32 v1, v0, 20, 1
	s_mov_b32 s12, 0x407ffff
	v_add3_u32 v1, v0, v1, s12
	v_lshrrev_b32_e32 v4, 20, v1
	v_and_b32_e32 v1, 0xff00000, v1
	s_mov_b32 s12, 0x7f00000
	v_mov_b32_e32 v5, 0x7e
	v_cmp_ne_u32_e32 vcc, s12, v1
	v_cndmask_b32_e32 v1, v5, v4, vcc
; %bb.873:
	s_andn2_saveexec_b64 s[10:11], s[10:11]
; %bb.874:
	s_mov_b32 s12, 0x46800000
	v_add_f32_e64 v1, |v0|, s12
; %bb.875:
	s_or_b64 exec, exec, s[10:11]
                                        ; implicit-def: $vgpr4
.LBB21_876:
	s_andn2_saveexec_b64 s[8:9], s[8:9]
; %bb.877:
	s_mov_b32 s10, 0x7f800000
	v_mov_b32_e32 v1, 0x7e
	v_mov_b32_e32 v5, 0x7f
	v_cmp_lt_u32_e32 vcc, s10, v4
	v_cndmask_b32_e32 v1, v1, v5, vcc
; %bb.878:
	s_or_b64 exec, exec, s[8:9]
	v_lshrrev_b32_e32 v4, 24, v0
	s_movk_i32 s8, 0x80
	v_and_or_b32 v1, v4, s8, v1
	global_store_byte v[2:3], v1, off
.LBB21_879:
	s_mov_b64 s[8:9], 0
.LBB21_880:
	s_andn2_b64 vcc, exec, s[8:9]
	s_cbranch_vccnz .LBB21_890
; %bb.881:
	v_and_b32_e32 v4, 0x7fffffff, v0
	s_mov_b32 s8, 0x47800000
	v_cmp_gt_u32_e32 vcc, s8, v4
                                        ; implicit-def: $vgpr1
	s_and_saveexec_b64 s[8:9], vcc
	s_xor_b64 s[8:9], exec, s[8:9]
	s_cbranch_execz .LBB21_887
; %bb.882:
	s_mov_b32 s10, 0x387fffff
	v_cmp_lt_u32_e32 vcc, s10, v4
                                        ; implicit-def: $vgpr1
	s_and_saveexec_b64 s[10:11], vcc
	s_xor_b64 s[10:11], exec, s[10:11]
; %bb.883:
	v_bfe_u32 v1, v0, 21, 1
	s_mov_b32 s12, 0x80fffff
	v_add3_u32 v1, v0, v1, s12
	v_lshrrev_b32_e32 v1, 21, v1
; %bb.884:
	s_andn2_saveexec_b64 s[10:11], s[10:11]
; %bb.885:
	s_mov_b32 s12, 0x43000000
	v_add_f32_e64 v1, |v0|, s12
; %bb.886:
	s_or_b64 exec, exec, s[10:11]
                                        ; implicit-def: $vgpr4
.LBB21_887:
	s_andn2_saveexec_b64 s[8:9], s[8:9]
; %bb.888:
	s_mov_b32 s10, 0x7f800000
	v_mov_b32_e32 v1, 0x7c
	v_mov_b32_e32 v5, 0x7f
	v_cmp_lt_u32_e32 vcc, s10, v4
	v_cndmask_b32_e32 v1, v1, v5, vcc
; %bb.889:
	s_or_b64 exec, exec, s[8:9]
	v_lshrrev_b32_e32 v4, 24, v0
	s_movk_i32 s8, 0x80
	v_and_or_b32 v1, v4, s8, v1
	global_store_byte v[2:3], v1, off
.LBB21_890:
	s_mov_b64 s[8:9], 0
.LBB21_891:
	s_andn2_b64 vcc, exec, s[8:9]
	s_mov_b64 s[8:9], 0
	s_cbranch_vccnz .LBB21_898
; %bb.892:
	s_cmp_gt_i32 s17, 14
	s_mov_b64 s[10:11], -1
	s_cbranch_scc0 .LBB21_896
; %bb.893:
	s_cmp_eq_u32 s17, 15
	s_mov_b64 s[4:5], -1
	s_cbranch_scc0 .LBB21_895
; %bb.894:
	v_bfe_u32 v1, v0, 16, 1
	s_movk_i32 s4, 0x7fff
	v_add3_u32 v1, v0, v1, s4
	v_cmp_o_f32_e32 vcc, v0, v0
	v_mov_b32_e32 v4, 0x7fc0
	v_cndmask_b32_sdwa v1, v4, v1, vcc dst_sel:DWORD dst_unused:UNUSED_PAD src0_sel:DWORD src1_sel:WORD_1
	global_store_short v[2:3], v1, off
	s_mov_b64 s[4:5], 0
.LBB21_895:
	s_mov_b64 s[10:11], 0
.LBB21_896:
	s_and_b64 vcc, exec, s[10:11]
	s_cbranch_vccz .LBB21_898
; %bb.897:
	s_cmp_lg_u32 s17, 11
	s_mov_b64 s[8:9], -1
	s_cselect_b64 s[4:5], -1, 0
.LBB21_898:
	s_and_b64 vcc, exec, s[4:5]
	s_cbranch_vccnz .LBB21_1004
.LBB21_899:
	s_mov_b64 s[4:5], 0
	s_branch .LBB21_940
.LBB21_900:
	s_mov_b64 s[10:11], 0
	s_cbranch_execz .LBB21_823
; %bb.901:
	s_and_b32 s8, 0xffff, s16
	s_cmp_lt_i32 s8, 5
	s_mov_b64 s[4:5], -1
	s_cbranch_scc1 .LBB21_922
; %bb.902:
	s_cmp_lt_i32 s8, 8
	s_cbranch_scc1 .LBB21_912
; %bb.903:
	s_cmp_lt_i32 s8, 9
	s_cbranch_scc1 .LBB21_909
; %bb.904:
	s_cmp_gt_i32 s8, 9
	s_cbranch_scc0 .LBB21_906
; %bb.905:
	v_cvt_f64_f32_e32 v[4:5], v20
	v_mov_b32_e32 v6, 0
	v_mov_b32_e32 v7, v6
	s_mov_b64 s[4:5], 0
	global_store_dwordx4 v[1:2], v[4:7], off
.LBB21_906:
	s_andn2_b64 vcc, exec, s[4:5]
	s_cbranch_vccnz .LBB21_908
; %bb.907:
	v_mov_b32_e32 v21, 0
	global_store_dwordx2 v[1:2], v[20:21], off
.LBB21_908:
	s_mov_b64 s[4:5], 0
.LBB21_909:
	s_andn2_b64 vcc, exec, s[4:5]
	s_cbranch_vccnz .LBB21_911
; %bb.910:
	v_cvt_f16_f32_e32 v4, v20
	global_store_dword v[1:2], v4, off
.LBB21_911:
	s_mov_b64 s[4:5], 0
.LBB21_912:
	s_andn2_b64 vcc, exec, s[4:5]
	s_cbranch_vccnz .LBB21_921
; %bb.913:
	s_cmp_lt_i32 s8, 6
	s_mov_b64 s[4:5], -1
	s_cbranch_scc1 .LBB21_919
; %bb.914:
	s_cmp_gt_i32 s8, 6
	s_cbranch_scc0 .LBB21_916
; %bb.915:
	v_cvt_f64_f32_e32 v[4:5], v20
	s_mov_b64 s[4:5], 0
	global_store_dwordx2 v[1:2], v[4:5], off
.LBB21_916:
	s_andn2_b64 vcc, exec, s[4:5]
	s_cbranch_vccnz .LBB21_918
; %bb.917:
	global_store_dword v[1:2], v20, off
.LBB21_918:
	s_mov_b64 s[4:5], 0
.LBB21_919:
	s_andn2_b64 vcc, exec, s[4:5]
	s_cbranch_vccnz .LBB21_921
; %bb.920:
	v_cvt_f16_f32_e32 v4, v20
	global_store_short v[1:2], v4, off
.LBB21_921:
	s_mov_b64 s[4:5], 0
.LBB21_922:
	s_andn2_b64 vcc, exec, s[4:5]
	s_cbranch_vccnz .LBB21_938
; %bb.923:
	s_cmp_lt_i32 s8, 2
	s_mov_b64 s[4:5], -1
	s_cbranch_scc1 .LBB21_933
; %bb.924:
	s_cmp_lt_i32 s8, 3
	s_cbranch_scc1 .LBB21_930
; %bb.925:
	s_cmp_gt_i32 s8, 3
	s_cbranch_scc0 .LBB21_927
; %bb.926:
	v_trunc_f32_e32 v4, v20
	s_mov_b32 s4, 0x2f800000
	v_mul_f32_e64 v5, |v4|, s4
	v_floor_f32_e32 v5, v5
	s_mov_b32 s4, 0xcf800000
	v_cvt_u32_f32_e32 v6, v5
	v_fma_f32 v5, v5, s4, |v4|
	v_cvt_u32_f32_e32 v5, v5
	v_ashrrev_i32_e32 v7, 31, v4
	v_xor_b32_e32 v6, v6, v7
	s_mov_b64 s[4:5], 0
	v_xor_b32_e32 v4, v5, v7
	v_sub_co_u32_e32 v4, vcc, v4, v7
	v_subb_co_u32_e32 v5, vcc, v6, v7, vcc
	global_store_dwordx2 v[1:2], v[4:5], off
.LBB21_927:
	s_andn2_b64 vcc, exec, s[4:5]
	s_cbranch_vccnz .LBB21_929
; %bb.928:
	v_cvt_i32_f32_e32 v4, v20
	global_store_dword v[1:2], v4, off
.LBB21_929:
	s_mov_b64 s[4:5], 0
.LBB21_930:
	s_andn2_b64 vcc, exec, s[4:5]
	s_cbranch_vccnz .LBB21_932
; %bb.931:
	v_cvt_i32_f32_e32 v4, v20
	global_store_short v[1:2], v4, off
.LBB21_932:
	s_mov_b64 s[4:5], 0
.LBB21_933:
	s_andn2_b64 vcc, exec, s[4:5]
	s_cbranch_vccnz .LBB21_938
; %bb.934:
	s_cmp_gt_i32 s8, 0
	s_mov_b64 s[4:5], -1
	s_cbranch_scc0 .LBB21_936
; %bb.935:
	v_cvt_i32_f32_e32 v4, v20
	s_mov_b64 s[4:5], 0
	global_store_byte v[1:2], v4, off
.LBB21_936:
	s_andn2_b64 vcc, exec, s[4:5]
	s_cbranch_vccnz .LBB21_938
; %bb.937:
	v_trunc_f32_e32 v4, v20
	s_mov_b32 s4, 0x2f800000
	v_mul_f32_e64 v5, |v4|, s4
	v_floor_f32_e32 v5, v5
	s_mov_b32 s4, 0xcf800000
	v_fma_f32 v5, v5, s4, |v4|
	v_cvt_u32_f32_e32 v5, v5
	v_ashrrev_i32_e32 v4, 31, v4
	v_xor_b32_e32 v5, v5, v4
	v_sub_u32_e32 v4, v5, v4
	global_store_byte v[1:2], v4, off
.LBB21_938:
	s_branch .LBB21_824
.LBB21_939:
	s_mov_b64 s[4:5], 0
	s_mov_b64 s[8:9], 0
                                        ; implicit-def: $sgpr16
                                        ; implicit-def: $vgpr2_vgpr3
.LBB21_940:
	s_and_b64 s[34:35], s[8:9], exec
	s_andn2_b64 s[8:9], s[42:43], exec
	s_and_b64 s[6:7], s[6:7], exec
	s_and_b64 s[4:5], s[4:5], exec
	s_or_b64 s[42:43], s[8:9], s[6:7]
.LBB21_941:
	s_or_b64 exec, exec, s[40:41]
	s_and_saveexec_b64 s[6:7], s[42:43]
	s_cbranch_execz .LBB21_944
; %bb.942:
	; divergent unreachable
	s_or_b64 exec, exec, s[6:7]
	s_and_saveexec_b64 s[6:7], s[34:35]
	s_xor_b64 s[6:7], exec, s[6:7]
	s_cbranch_execnz .LBB21_945
.LBB21_943:
	s_or_b64 exec, exec, s[6:7]
	s_and_saveexec_b64 s[6:7], s[4:5]
	s_cbranch_execnz .LBB21_946
	s_branch .LBB21_983
.LBB21_944:
	s_or_b64 exec, exec, s[6:7]
	s_and_saveexec_b64 s[6:7], s[34:35]
	s_xor_b64 s[6:7], exec, s[6:7]
	s_cbranch_execz .LBB21_943
.LBB21_945:
	v_cmp_neq_f32_e32 vcc, 0, v0
	v_cndmask_b32_e64 v1, 0, 1, vcc
	global_store_byte v[2:3], v1, off
	s_or_b64 exec, exec, s[6:7]
	s_and_saveexec_b64 s[6:7], s[4:5]
	s_cbranch_execz .LBB21_983
.LBB21_946:
	s_sext_i32_i16 s6, s16
	s_cmp_lt_i32 s6, 5
	s_mov_b64 s[4:5], -1
	s_cbranch_scc1 .LBB21_967
; %bb.947:
	s_cmp_lt_i32 s6, 8
	s_cbranch_scc1 .LBB21_957
; %bb.948:
	s_cmp_lt_i32 s6, 9
	s_cbranch_scc1 .LBB21_954
; %bb.949:
	s_cmp_gt_i32 s6, 9
	s_cbranch_scc0 .LBB21_951
; %bb.950:
	v_cvt_f64_f32_e32 v[4:5], v0
	v_mov_b32_e32 v6, 0
	v_mov_b32_e32 v7, v6
	s_mov_b64 s[4:5], 0
	global_store_dwordx4 v[2:3], v[4:7], off
.LBB21_951:
	s_andn2_b64 vcc, exec, s[4:5]
	s_cbranch_vccnz .LBB21_953
; %bb.952:
	v_mov_b32_e32 v1, 0
	global_store_dwordx2 v[2:3], v[0:1], off
.LBB21_953:
	s_mov_b64 s[4:5], 0
.LBB21_954:
	s_andn2_b64 vcc, exec, s[4:5]
	s_cbranch_vccnz .LBB21_956
; %bb.955:
	v_cvt_f16_f32_e32 v1, v0
	global_store_dword v[2:3], v1, off
.LBB21_956:
	s_mov_b64 s[4:5], 0
.LBB21_957:
	s_andn2_b64 vcc, exec, s[4:5]
	s_cbranch_vccnz .LBB21_966
; %bb.958:
	s_sext_i32_i16 s6, s16
	s_cmp_lt_i32 s6, 6
	s_mov_b64 s[4:5], -1
	s_cbranch_scc1 .LBB21_964
; %bb.959:
	s_cmp_gt_i32 s6, 6
	s_cbranch_scc0 .LBB21_961
; %bb.960:
	v_cvt_f64_f32_e32 v[4:5], v0
	s_mov_b64 s[4:5], 0
	global_store_dwordx2 v[2:3], v[4:5], off
.LBB21_961:
	s_andn2_b64 vcc, exec, s[4:5]
	s_cbranch_vccnz .LBB21_963
; %bb.962:
	global_store_dword v[2:3], v0, off
.LBB21_963:
	s_mov_b64 s[4:5], 0
.LBB21_964:
	s_andn2_b64 vcc, exec, s[4:5]
	s_cbranch_vccnz .LBB21_966
; %bb.965:
	v_cvt_f16_f32_e32 v1, v0
	global_store_short v[2:3], v1, off
.LBB21_966:
	s_mov_b64 s[4:5], 0
.LBB21_967:
	s_andn2_b64 vcc, exec, s[4:5]
	s_cbranch_vccnz .LBB21_983
; %bb.968:
	s_sext_i32_i16 s6, s16
	s_cmp_lt_i32 s6, 2
	s_mov_b64 s[4:5], -1
	s_cbranch_scc1 .LBB21_978
; %bb.969:
	s_cmp_lt_i32 s6, 3
	s_cbranch_scc1 .LBB21_975
; %bb.970:
	s_cmp_gt_i32 s6, 3
	s_cbranch_scc0 .LBB21_972
; %bb.971:
	v_trunc_f32_e32 v1, v0
	s_mov_b32 s4, 0x2f800000
	v_mul_f32_e64 v4, |v1|, s4
	v_floor_f32_e32 v4, v4
	s_mov_b32 s4, 0xcf800000
	v_cvt_u32_f32_e32 v5, v4
	v_fma_f32 v4, v4, s4, |v1|
	v_cvt_u32_f32_e32 v4, v4
	v_ashrrev_i32_e32 v1, 31, v1
	v_xor_b32_e32 v5, v5, v1
	s_mov_b64 s[4:5], 0
	v_xor_b32_e32 v4, v4, v1
	v_sub_co_u32_e32 v4, vcc, v4, v1
	v_subb_co_u32_e32 v5, vcc, v5, v1, vcc
	global_store_dwordx2 v[2:3], v[4:5], off
.LBB21_972:
	s_andn2_b64 vcc, exec, s[4:5]
	s_cbranch_vccnz .LBB21_974
; %bb.973:
	v_cvt_i32_f32_e32 v1, v0
	global_store_dword v[2:3], v1, off
.LBB21_974:
	s_mov_b64 s[4:5], 0
.LBB21_975:
	s_andn2_b64 vcc, exec, s[4:5]
	s_cbranch_vccnz .LBB21_977
; %bb.976:
	v_cvt_i32_f32_e32 v1, v0
	global_store_short v[2:3], v1, off
.LBB21_977:
	s_mov_b64 s[4:5], 0
.LBB21_978:
	s_andn2_b64 vcc, exec, s[4:5]
	s_cbranch_vccnz .LBB21_983
; %bb.979:
	s_sext_i32_i16 s4, s16
	s_cmp_gt_i32 s4, 0
	s_mov_b64 s[4:5], -1
	s_cbranch_scc0 .LBB21_981
; %bb.980:
	v_cvt_i32_f32_e32 v1, v0
	s_mov_b64 s[4:5], 0
	global_store_byte v[2:3], v1, off
.LBB21_981:
	s_andn2_b64 vcc, exec, s[4:5]
	s_cbranch_vccnz .LBB21_983
; %bb.982:
	v_trunc_f32_e32 v0, v0
	s_mov_b32 s4, 0x2f800000
	v_mul_f32_e64 v1, |v0|, s4
	v_floor_f32_e32 v1, v1
	s_mov_b32 s4, 0xcf800000
	v_fma_f32 v1, v1, s4, |v0|
	v_cvt_u32_f32_e32 v1, v1
	v_ashrrev_i32_e32 v0, 31, v0
	v_xor_b32_e32 v1, v1, v0
	v_sub_u32_e32 v0, v1, v0
	global_store_byte v[2:3], v0, off
	s_endpgm
.LBB21_983:
	s_endpgm
.LBB21_984:
	s_mov_b64 s[8:9], 0
	s_mov_b64 s[4:5], -1
	s_branch .LBB21_940
.LBB21_985:
	s_andn2_saveexec_b64 s[12:13], s[12:13]
	s_cbranch_execz .LBB21_537
.LBB21_986:
	s_mov_b32 s15, 0x46000000
	v_add_f32_e64 v4, |v22|, s15
	v_and_b32_e32 v4, 0xff, v4
	v_cmp_ne_u32_e32 vcc, 0, v4
	s_andn2_b64 s[10:11], s[10:11], exec
	s_and_b64 s[18:19], vcc, exec
	s_or_b64 s[10:11], s[10:11], s[18:19]
	s_or_b64 exec, exec, s[12:13]
	v_mov_b32_e32 v5, 0
	s_and_saveexec_b64 s[12:13], s[10:11]
	s_cbranch_execnz .LBB21_538
	s_branch .LBB21_539
.LBB21_987:
	s_or_b64 s[6:7], s[42:43], exec
	s_trap 2
	s_cbranch_execz .LBB21_585
	s_branch .LBB21_586
.LBB21_988:
	s_andn2_saveexec_b64 s[10:11], s[10:11]
	s_cbranch_execz .LBB21_550
.LBB21_989:
	s_mov_b32 s12, 0x42800000
	v_add_f32_e64 v4, |v22|, s12
	v_and_b32_e32 v4, 0xff, v4
	v_cmp_ne_u32_e32 vcc, 0, v4
	s_andn2_b64 s[8:9], s[8:9], exec
	s_and_b64 s[12:13], vcc, exec
	s_or_b64 s[8:9], s[8:9], s[12:13]
	s_or_b64 exec, exec, s[10:11]
	v_mov_b32_e32 v5, 0
	s_and_saveexec_b64 s[10:11], s[8:9]
	s_cbranch_execnz .LBB21_551
	s_branch .LBB21_552
.LBB21_990:
	s_andn2_saveexec_b64 s[14:15], s[14:15]
	s_cbranch_execz .LBB21_655
.LBB21_991:
	s_mov_b32 s19, 0x46000000
	v_add_f32_e64 v4, |v21|, s19
	v_and_b32_e32 v4, 0xff, v4
	v_cmp_ne_u32_e32 vcc, 0, v4
	s_andn2_b64 s[12:13], s[12:13], exec
	s_and_b64 s[20:21], vcc, exec
	s_or_b64 s[12:13], s[12:13], s[20:21]
	s_or_b64 exec, exec, s[14:15]
	v_mov_b32_e32 v5, 0
	s_and_saveexec_b64 s[14:15], s[12:13]
	s_cbranch_execnz .LBB21_656
	s_branch .LBB21_657
.LBB21_992:
	s_trap 2
	s_or_b64 s[6:7], s[6:7], exec
	s_cbranch_execz .LBB21_703
	s_branch .LBB21_704
.LBB21_993:
	s_andn2_saveexec_b64 s[12:13], s[12:13]
	s_cbranch_execz .LBB21_668
.LBB21_994:
	s_mov_b32 s14, 0x42800000
	v_add_f32_e64 v4, |v21|, s14
	v_and_b32_e32 v4, 0xff, v4
	v_cmp_ne_u32_e32 vcc, 0, v4
	s_andn2_b64 s[10:11], s[10:11], exec
	s_and_b64 s[14:15], vcc, exec
	s_or_b64 s[10:11], s[10:11], s[14:15]
	s_or_b64 exec, exec, s[12:13]
	v_mov_b32_e32 v5, 0
	s_and_saveexec_b64 s[12:13], s[10:11]
	s_cbranch_execnz .LBB21_669
	s_branch .LBB21_670
.LBB21_995:
	s_andn2_saveexec_b64 s[14:15], s[14:15]
	s_cbranch_execz .LBB21_773
.LBB21_996:
	s_mov_b32 s19, 0x46000000
	v_add_f32_e64 v4, |v20|, s19
	v_and_b32_e32 v4, 0xff, v4
	v_cmp_ne_u32_e32 vcc, 0, v4
	s_andn2_b64 s[12:13], s[12:13], exec
	s_and_b64 s[20:21], vcc, exec
	s_or_b64 s[12:13], s[12:13], s[20:21]
	s_or_b64 exec, exec, s[14:15]
	v_mov_b32_e32 v5, 0
	s_and_saveexec_b64 s[14:15], s[12:13]
	s_cbranch_execnz .LBB21_774
	s_branch .LBB21_775
.LBB21_997:
	s_trap 2
	s_or_b64 s[6:7], s[6:7], exec
	s_cbranch_execz .LBB21_821
	s_branch .LBB21_822
.LBB21_998:
	s_andn2_saveexec_b64 s[10:11], s[10:11]
	s_cbranch_execz .LBB21_295
.LBB21_999:
	s_mov_b32 s14, 0x46000000
	v_add_f32_e64 v1, |v0|, s14
	v_and_b32_e32 v1, 0xff, v1
	v_cmp_ne_u32_e32 vcc, 0, v1
	s_andn2_b64 s[8:9], s[8:9], exec
	s_and_b64 s[14:15], vcc, exec
	s_or_b64 s[8:9], s[8:9], s[14:15]
	s_or_b64 exec, exec, s[10:11]
	v_mov_b32_e32 v4, 0
	s_and_saveexec_b64 s[10:11], s[8:9]
	s_cbranch_execnz .LBB21_296
	s_branch .LBB21_297
.LBB21_1000:
	s_andn2_saveexec_b64 s[12:13], s[12:13]
	s_cbranch_execz .LBB21_786
.LBB21_1001:
	s_mov_b32 s14, 0x42800000
	v_add_f32_e64 v4, |v20|, s14
	v_and_b32_e32 v4, 0xff, v4
	v_cmp_ne_u32_e32 vcc, 0, v4
	s_andn2_b64 s[10:11], s[10:11], exec
	s_and_b64 s[14:15], vcc, exec
	s_or_b64 s[10:11], s[10:11], s[14:15]
	s_or_b64 exec, exec, s[12:13]
	v_mov_b32_e32 v5, 0
	s_and_saveexec_b64 s[12:13], s[10:11]
	s_cbranch_execnz .LBB21_787
	s_branch .LBB21_788
.LBB21_1002:
	s_andn2_saveexec_b64 s[14:15], s[14:15]
	s_cbranch_execz .LBB21_853
.LBB21_1003:
	s_mov_b32 s18, 0x46000000
	v_add_f32_e64 v1, |v0|, s18
	v_and_b32_e32 v1, 0xff, v1
	v_cmp_ne_u32_e32 vcc, 0, v1
	s_andn2_b64 s[12:13], s[12:13], exec
	s_and_b64 s[18:19], vcc, exec
	s_or_b64 s[12:13], s[12:13], s[18:19]
	s_or_b64 exec, exec, s[14:15]
	v_mov_b32_e32 v4, 0
	s_and_saveexec_b64 s[14:15], s[12:13]
	s_cbranch_execnz .LBB21_854
	s_branch .LBB21_855
.LBB21_1004:
	s_mov_b64 s[8:9], 0
	s_or_b64 s[6:7], s[6:7], exec
	s_trap 2
	s_branch .LBB21_899
.LBB21_1005:
	s_andn2_saveexec_b64 s[10:11], s[10:11]
	s_cbranch_execz .LBB21_308
.LBB21_1006:
	s_mov_b32 s14, 0x42800000
	v_add_f32_e64 v1, |v0|, s14
	v_and_b32_e32 v1, 0xff, v1
	v_cmp_ne_u32_e32 vcc, 0, v1
	s_andn2_b64 s[8:9], s[8:9], exec
	s_and_b64 s[14:15], vcc, exec
	s_or_b64 s[8:9], s[8:9], s[14:15]
	s_or_b64 exec, exec, s[10:11]
	v_mov_b32_e32 v4, 0
	s_and_saveexec_b64 s[10:11], s[8:9]
	s_cbranch_execnz .LBB21_309
	s_branch .LBB21_310
.LBB21_1007:
	s_andn2_saveexec_b64 s[10:11], s[10:11]
	s_cbranch_execz .LBB21_418
.LBB21_1008:
	s_mov_b32 s12, 0x46000000
	v_add_f32_e64 v1, |v0|, s12
	v_and_b32_e32 v1, 0xff, v1
	v_cmp_ne_u32_e32 vcc, 0, v1
	s_andn2_b64 s[8:9], s[8:9], exec
	s_and_b64 s[12:13], vcc, exec
	s_or_b64 s[8:9], s[8:9], s[12:13]
	s_or_b64 exec, exec, s[10:11]
	v_mov_b32_e32 v4, 0
	s_and_saveexec_b64 s[10:11], s[8:9]
	s_cbranch_execnz .LBB21_419
	s_branch .LBB21_420
.LBB21_1009:
	s_andn2_saveexec_b64 s[12:13], s[12:13]
	s_cbranch_execz .LBB21_865
.LBB21_1010:
	s_mov_b32 s14, 0x42800000
	v_add_f32_e64 v1, |v0|, s14
	v_and_b32_e32 v1, 0xff, v1
	v_cmp_ne_u32_e32 vcc, 0, v1
	s_andn2_b64 s[10:11], s[10:11], exec
	s_and_b64 s[14:15], vcc, exec
	s_or_b64 s[10:11], s[10:11], s[14:15]
	s_or_b64 exec, exec, s[12:13]
	v_mov_b32_e32 v4, 0
	s_and_saveexec_b64 s[12:13], s[10:11]
	s_cbranch_execnz .LBB21_866
	s_branch .LBB21_867
.LBB21_1011:
	s_andn2_saveexec_b64 s[12:13], s[12:13]
	s_cbranch_execz .LBB21_430
.LBB21_1012:
	s_mov_b32 s16, 0x42800000
	v_add_f32_e64 v1, |v0|, s16
	v_and_b32_e32 v1, 0xff, v1
	v_cmp_ne_u32_e32 vcc, 0, v1
	s_andn2_b64 s[10:11], s[10:11], exec
	s_and_b64 s[16:17], vcc, exec
	s_or_b64 s[10:11], s[10:11], s[16:17]
	s_or_b64 exec, exec, s[12:13]
	v_mov_b32_e32 v4, 0
	s_and_saveexec_b64 s[12:13], s[10:11]
	s_cbranch_execnz .LBB21_431
	s_branch .LBB21_432
	.section	.rodata,"a",@progbits
	.p2align	6, 0x0
	.amdhsa_kernel _ZN2at6native32elementwise_kernel_manual_unrollILi128ELi4EZNS0_15gpu_kernel_implIZZZNS0_12_GLOBAL__N_121bessel_y0_kernel_cudaERNS_18TensorIteratorBaseEENKUlvE_clEvENKUlvE0_clEvEUlfE_EEvS5_RKT_EUlibE_EEviT1_
		.amdhsa_group_segment_fixed_size 0
		.amdhsa_private_segment_fixed_size 0
		.amdhsa_kernarg_size 40
		.amdhsa_user_sgpr_count 6
		.amdhsa_user_sgpr_private_segment_buffer 1
		.amdhsa_user_sgpr_dispatch_ptr 0
		.amdhsa_user_sgpr_queue_ptr 0
		.amdhsa_user_sgpr_kernarg_segment_ptr 1
		.amdhsa_user_sgpr_dispatch_id 0
		.amdhsa_user_sgpr_flat_scratch_init 0
		.amdhsa_user_sgpr_private_segment_size 0
		.amdhsa_uses_dynamic_stack 0
		.amdhsa_system_sgpr_private_segment_wavefront_offset 0
		.amdhsa_system_sgpr_workgroup_id_x 1
		.amdhsa_system_sgpr_workgroup_id_y 0
		.amdhsa_system_sgpr_workgroup_id_z 0
		.amdhsa_system_sgpr_workgroup_info 0
		.amdhsa_system_vgpr_workitem_id 0
		.amdhsa_next_free_vgpr 27
		.amdhsa_next_free_sgpr 56
		.amdhsa_reserve_vcc 1
		.amdhsa_reserve_flat_scratch 0
		.amdhsa_float_round_mode_32 0
		.amdhsa_float_round_mode_16_64 0
		.amdhsa_float_denorm_mode_32 3
		.amdhsa_float_denorm_mode_16_64 3
		.amdhsa_dx10_clamp 1
		.amdhsa_ieee_mode 1
		.amdhsa_fp16_overflow 0
		.amdhsa_exception_fp_ieee_invalid_op 0
		.amdhsa_exception_fp_denorm_src 0
		.amdhsa_exception_fp_ieee_div_zero 0
		.amdhsa_exception_fp_ieee_overflow 0
		.amdhsa_exception_fp_ieee_underflow 0
		.amdhsa_exception_fp_ieee_inexact 0
		.amdhsa_exception_int_div_zero 0
	.end_amdhsa_kernel
	.section	.text._ZN2at6native32elementwise_kernel_manual_unrollILi128ELi4EZNS0_15gpu_kernel_implIZZZNS0_12_GLOBAL__N_121bessel_y0_kernel_cudaERNS_18TensorIteratorBaseEENKUlvE_clEvENKUlvE0_clEvEUlfE_EEvS5_RKT_EUlibE_EEviT1_,"axG",@progbits,_ZN2at6native32elementwise_kernel_manual_unrollILi128ELi4EZNS0_15gpu_kernel_implIZZZNS0_12_GLOBAL__N_121bessel_y0_kernel_cudaERNS_18TensorIteratorBaseEENKUlvE_clEvENKUlvE0_clEvEUlfE_EEvS5_RKT_EUlibE_EEviT1_,comdat
.Lfunc_end21:
	.size	_ZN2at6native32elementwise_kernel_manual_unrollILi128ELi4EZNS0_15gpu_kernel_implIZZZNS0_12_GLOBAL__N_121bessel_y0_kernel_cudaERNS_18TensorIteratorBaseEENKUlvE_clEvENKUlvE0_clEvEUlfE_EEvS5_RKT_EUlibE_EEviT1_, .Lfunc_end21-_ZN2at6native32elementwise_kernel_manual_unrollILi128ELi4EZNS0_15gpu_kernel_implIZZZNS0_12_GLOBAL__N_121bessel_y0_kernel_cudaERNS_18TensorIteratorBaseEENKUlvE_clEvENKUlvE0_clEvEUlfE_EEvS5_RKT_EUlibE_EEviT1_
                                        ; -- End function
	.set _ZN2at6native32elementwise_kernel_manual_unrollILi128ELi4EZNS0_15gpu_kernel_implIZZZNS0_12_GLOBAL__N_121bessel_y0_kernel_cudaERNS_18TensorIteratorBaseEENKUlvE_clEvENKUlvE0_clEvEUlfE_EEvS5_RKT_EUlibE_EEviT1_.num_vgpr, max(27, .L_ZN2at6native6invokeIZZZNS0_12_GLOBAL__N_121bessel_y0_kernel_cudaERNS_18TensorIteratorBaseEENKUlvE_clEvENKUlvE0_clEvEUlfE_i15function_traitsIS7_EEENT1_11result_typeERKT_PrKPcPKT0_PKN3c1010ScalarTypeEi.num_vgpr)
	.set _ZN2at6native32elementwise_kernel_manual_unrollILi128ELi4EZNS0_15gpu_kernel_implIZZZNS0_12_GLOBAL__N_121bessel_y0_kernel_cudaERNS_18TensorIteratorBaseEENKUlvE_clEvENKUlvE0_clEvEUlfE_EEvS5_RKT_EUlibE_EEviT1_.num_agpr, max(0, .L_ZN2at6native6invokeIZZZNS0_12_GLOBAL__N_121bessel_y0_kernel_cudaERNS_18TensorIteratorBaseEENKUlvE_clEvENKUlvE0_clEvEUlfE_i15function_traitsIS7_EEENT1_11result_typeERKT_PrKPcPKT0_PKN3c1010ScalarTypeEi.num_agpr)
	.set _ZN2at6native32elementwise_kernel_manual_unrollILi128ELi4EZNS0_15gpu_kernel_implIZZZNS0_12_GLOBAL__N_121bessel_y0_kernel_cudaERNS_18TensorIteratorBaseEENKUlvE_clEvENKUlvE0_clEvEUlfE_EEvS5_RKT_EUlibE_EEviT1_.numbered_sgpr, max(56, .L_ZN2at6native6invokeIZZZNS0_12_GLOBAL__N_121bessel_y0_kernel_cudaERNS_18TensorIteratorBaseEENKUlvE_clEvENKUlvE0_clEvEUlfE_i15function_traitsIS7_EEENT1_11result_typeERKT_PrKPcPKT0_PKN3c1010ScalarTypeEi.numbered_sgpr)
	.set _ZN2at6native32elementwise_kernel_manual_unrollILi128ELi4EZNS0_15gpu_kernel_implIZZZNS0_12_GLOBAL__N_121bessel_y0_kernel_cudaERNS_18TensorIteratorBaseEENKUlvE_clEvENKUlvE0_clEvEUlfE_EEvS5_RKT_EUlibE_EEviT1_.num_named_barrier, max(0, .L_ZN2at6native6invokeIZZZNS0_12_GLOBAL__N_121bessel_y0_kernel_cudaERNS_18TensorIteratorBaseEENKUlvE_clEvENKUlvE0_clEvEUlfE_i15function_traitsIS7_EEENT1_11result_typeERKT_PrKPcPKT0_PKN3c1010ScalarTypeEi.num_named_barrier)
	.set _ZN2at6native32elementwise_kernel_manual_unrollILi128ELi4EZNS0_15gpu_kernel_implIZZZNS0_12_GLOBAL__N_121bessel_y0_kernel_cudaERNS_18TensorIteratorBaseEENKUlvE_clEvENKUlvE0_clEvEUlfE_EEvS5_RKT_EUlibE_EEviT1_.private_seg_size, 0+max(.L_ZN2at6native6invokeIZZZNS0_12_GLOBAL__N_121bessel_y0_kernel_cudaERNS_18TensorIteratorBaseEENKUlvE_clEvENKUlvE0_clEvEUlfE_i15function_traitsIS7_EEENT1_11result_typeERKT_PrKPcPKT0_PKN3c1010ScalarTypeEi.private_seg_size)
	.set _ZN2at6native32elementwise_kernel_manual_unrollILi128ELi4EZNS0_15gpu_kernel_implIZZZNS0_12_GLOBAL__N_121bessel_y0_kernel_cudaERNS_18TensorIteratorBaseEENKUlvE_clEvENKUlvE0_clEvEUlfE_EEvS5_RKT_EUlibE_EEviT1_.uses_vcc, or(1, .L_ZN2at6native6invokeIZZZNS0_12_GLOBAL__N_121bessel_y0_kernel_cudaERNS_18TensorIteratorBaseEENKUlvE_clEvENKUlvE0_clEvEUlfE_i15function_traitsIS7_EEENT1_11result_typeERKT_PrKPcPKT0_PKN3c1010ScalarTypeEi.uses_vcc)
	.set _ZN2at6native32elementwise_kernel_manual_unrollILi128ELi4EZNS0_15gpu_kernel_implIZZZNS0_12_GLOBAL__N_121bessel_y0_kernel_cudaERNS_18TensorIteratorBaseEENKUlvE_clEvENKUlvE0_clEvEUlfE_EEvS5_RKT_EUlibE_EEviT1_.uses_flat_scratch, or(0, .L_ZN2at6native6invokeIZZZNS0_12_GLOBAL__N_121bessel_y0_kernel_cudaERNS_18TensorIteratorBaseEENKUlvE_clEvENKUlvE0_clEvEUlfE_i15function_traitsIS7_EEENT1_11result_typeERKT_PrKPcPKT0_PKN3c1010ScalarTypeEi.uses_flat_scratch)
	.set _ZN2at6native32elementwise_kernel_manual_unrollILi128ELi4EZNS0_15gpu_kernel_implIZZZNS0_12_GLOBAL__N_121bessel_y0_kernel_cudaERNS_18TensorIteratorBaseEENKUlvE_clEvENKUlvE0_clEvEUlfE_EEvS5_RKT_EUlibE_EEviT1_.has_dyn_sized_stack, or(0, .L_ZN2at6native6invokeIZZZNS0_12_GLOBAL__N_121bessel_y0_kernel_cudaERNS_18TensorIteratorBaseEENKUlvE_clEvENKUlvE0_clEvEUlfE_i15function_traitsIS7_EEENT1_11result_typeERKT_PrKPcPKT0_PKN3c1010ScalarTypeEi.has_dyn_sized_stack)
	.set _ZN2at6native32elementwise_kernel_manual_unrollILi128ELi4EZNS0_15gpu_kernel_implIZZZNS0_12_GLOBAL__N_121bessel_y0_kernel_cudaERNS_18TensorIteratorBaseEENKUlvE_clEvENKUlvE0_clEvEUlfE_EEvS5_RKT_EUlibE_EEviT1_.has_recursion, or(0, .L_ZN2at6native6invokeIZZZNS0_12_GLOBAL__N_121bessel_y0_kernel_cudaERNS_18TensorIteratorBaseEENKUlvE_clEvENKUlvE0_clEvEUlfE_i15function_traitsIS7_EEENT1_11result_typeERKT_PrKPcPKT0_PKN3c1010ScalarTypeEi.has_recursion)
	.set _ZN2at6native32elementwise_kernel_manual_unrollILi128ELi4EZNS0_15gpu_kernel_implIZZZNS0_12_GLOBAL__N_121bessel_y0_kernel_cudaERNS_18TensorIteratorBaseEENKUlvE_clEvENKUlvE0_clEvEUlfE_EEvS5_RKT_EUlibE_EEviT1_.has_indirect_call, or(0, .L_ZN2at6native6invokeIZZZNS0_12_GLOBAL__N_121bessel_y0_kernel_cudaERNS_18TensorIteratorBaseEENKUlvE_clEvENKUlvE0_clEvEUlfE_i15function_traitsIS7_EEENT1_11result_typeERKT_PrKPcPKT0_PKN3c1010ScalarTypeEi.has_indirect_call)
	.section	.AMDGPU.csdata,"",@progbits
; Kernel info:
; codeLenInByte = 16928
; TotalNumSgprs: 60
; NumVgprs: 27
; ScratchSize: 0
; MemoryBound: 0
; FloatMode: 240
; IeeeMode: 1
; LDSByteSize: 0 bytes/workgroup (compile time only)
; SGPRBlocks: 7
; VGPRBlocks: 6
; NumSGPRsForWavesPerEU: 60
; NumVGPRsForWavesPerEU: 27
; Occupancy: 9
; WaveLimiterHint : 0
; COMPUTE_PGM_RSRC2:SCRATCH_EN: 0
; COMPUTE_PGM_RSRC2:USER_SGPR: 6
; COMPUTE_PGM_RSRC2:TRAP_HANDLER: 0
; COMPUTE_PGM_RSRC2:TGID_X_EN: 1
; COMPUTE_PGM_RSRC2:TGID_Y_EN: 0
; COMPUTE_PGM_RSRC2:TGID_Z_EN: 0
; COMPUTE_PGM_RSRC2:TIDIG_COMP_CNT: 0
	.text
	.p2align	2                               ; -- Begin function _ZN2at6native6invokeIZZZNS0_12_GLOBAL__N_121bessel_y0_kernel_cudaERNS_18TensorIteratorBaseEENKUlvE_clEvENKUlvE0_clEvEUlfE_j15function_traitsIS7_EEENT1_11result_typeERKT_PrKPcPKT0_PKN3c1010ScalarTypeEi
	.type	_ZN2at6native6invokeIZZZNS0_12_GLOBAL__N_121bessel_y0_kernel_cudaERNS_18TensorIteratorBaseEENKUlvE_clEvENKUlvE0_clEvEUlfE_j15function_traitsIS7_EEENT1_11result_typeERKT_PrKPcPKT0_PKN3c1010ScalarTypeEi,@function
_ZN2at6native6invokeIZZZNS0_12_GLOBAL__N_121bessel_y0_kernel_cudaERNS_18TensorIteratorBaseEENKUlvE_clEvENKUlvE0_clEvEUlfE_j15function_traitsIS7_EEENT1_11result_typeERKT_PrKPcPKT0_PKN3c1010ScalarTypeEi: ; @_ZN2at6native6invokeIZZZNS0_12_GLOBAL__N_121bessel_y0_kernel_cudaERNS_18TensorIteratorBaseEENKUlvE_clEvENKUlvE0_clEvEUlfE_j15function_traitsIS7_EEENT1_11result_typeERKT_PrKPcPKT0_PKN3c1010ScalarTypeEi
; %bb.0:
	s_waitcnt vmcnt(0) expcnt(0) lgkmcnt(0)
	v_add_co_u32_e32 v0, vcc, v0, v2
	v_mov_b32_e32 v2, 10
	v_addc_co_u32_e32 v1, vcc, 0, v1, vcc
	v_cmp_gt_i16_sdwa s[4:5], v3, v2 src0_sel:BYTE_0 src1_sel:DWORD
	s_mov_b64 s[6:7], 0
                                        ; implicit-def: $vgpr2
	s_and_saveexec_b64 s[8:9], s[4:5]
	s_xor_b64 s[4:5], exec, s[8:9]
	s_cbranch_execz .LBB22_53
; %bb.1:
	v_mov_b32_e32 v2, 25
	v_cmp_gt_i16_sdwa s[10:11], v3, v2 src0_sel:BYTE_0 src1_sel:DWORD
	s_mov_b64 s[12:13], 0
	s_mov_b64 s[8:9], 0
                                        ; implicit-def: $vgpr2
	s_and_saveexec_b64 s[14:15], s[10:11]
	s_xor_b64 s[10:11], exec, s[14:15]
	s_cbranch_execz .LBB22_96
; %bb.2:
	v_mov_b32_e32 v2, 28
	v_cmp_gt_i16_sdwa s[8:9], v3, v2 src0_sel:BYTE_0 src1_sel:DWORD
	s_mov_b64 s[14:15], 0
                                        ; implicit-def: $vgpr2
	s_and_saveexec_b64 s[16:17], s[8:9]
	s_xor_b64 s[8:9], exec, s[16:17]
	s_cbranch_execz .LBB22_18
; %bb.3:
	v_mov_b32_e32 v2, 43
	v_cmp_gt_i16_sdwa s[12:13], v3, v2 src0_sel:BYTE_0 src1_sel:DWORD
	s_mov_b64 s[16:17], 0
	s_mov_b64 s[18:19], 0
                                        ; implicit-def: $vgpr2
	s_and_saveexec_b64 s[14:15], s[12:13]
	s_xor_b64 s[12:13], exec, s[14:15]
	s_cbranch_execz .LBB22_13
; %bb.4:
	v_mov_b32_e32 v2, 45
	v_cmp_gt_i16_sdwa s[18:19], v3, v2 src0_sel:BYTE_0 src1_sel:DWORD
	s_mov_b64 s[14:15], 0
                                        ; implicit-def: $vgpr2
	s_and_saveexec_b64 s[20:21], s[18:19]
	s_xor_b64 s[18:19], exec, s[20:21]
	s_cbranch_execz .LBB22_8
; %bb.5:
	v_mov_b32_e32 v2, 46
	v_cmp_eq_u16_sdwa s[22:23], v3, v2 src0_sel:BYTE_0 src1_sel:DWORD
	s_mov_b64 s[20:21], -1
                                        ; implicit-def: $vgpr2
	s_and_saveexec_b64 s[16:17], s[22:23]
	s_cbranch_execz .LBB22_7
; %bb.6:
	flat_load_dword v2, v[0:1]
	s_mov_b64 s[14:15], exec
	s_xor_b64 s[20:21], exec, -1
	s_waitcnt vmcnt(0) lgkmcnt(0)
	v_lshlrev_b32_e32 v2, 16, v2
.LBB22_7:
	s_or_b64 exec, exec, s[16:17]
	s_and_b64 s[16:17], s[14:15], exec
	s_and_b64 s[14:15], s[20:21], exec
                                        ; implicit-def: $vgpr3
.LBB22_8:
	s_andn2_saveexec_b64 s[18:19], s[18:19]
	s_cbranch_execz .LBB22_12
; %bb.9:
	v_mov_b32_e32 v2, 44
	v_cmp_eq_u16_sdwa s[26:27], v3, v2 src0_sel:BYTE_0 src1_sel:DWORD
	s_mov_b64 s[24:25], -1
	s_mov_b64 s[22:23], s[16:17]
                                        ; implicit-def: $vgpr2
	s_and_saveexec_b64 s[20:21], s[26:27]
	s_cbranch_execz .LBB22_11
; %bb.10:
	flat_load_ubyte v2, v[0:1]
	s_movk_i32 s24, 0xff
	v_mov_b32_e32 v3, 0x7f800001
	v_mov_b32_e32 v4, 0x400000
	s_or_b64 s[22:23], s[16:17], exec
	s_waitcnt vmcnt(0) lgkmcnt(0)
	v_lshlrev_b32_e32 v5, 23, v2
	v_cmp_ne_u32_e32 vcc, s24, v2
	v_cndmask_b32_e32 v3, v3, v5, vcc
	v_cmp_ne_u32_e32 vcc, 0, v2
	v_cndmask_b32_e32 v2, v4, v3, vcc
	s_xor_b64 s[24:25], exec, -1
.LBB22_11:
	s_or_b64 exec, exec, s[20:21]
	s_andn2_b64 s[16:17], s[16:17], exec
	s_and_b64 s[20:21], s[22:23], exec
	s_or_b64 s[16:17], s[16:17], s[20:21]
	s_andn2_b64 s[14:15], s[14:15], exec
	s_and_b64 s[20:21], s[24:25], exec
	s_or_b64 s[14:15], s[14:15], s[20:21]
.LBB22_12:
	s_or_b64 exec, exec, s[18:19]
	s_and_b64 s[18:19], s[16:17], exec
	s_and_b64 s[16:17], s[14:15], exec
                                        ; implicit-def: $vgpr3
.LBB22_13:
	s_andn2_saveexec_b64 s[12:13], s[12:13]
	s_cbranch_execz .LBB22_17
; %bb.14:
	v_mov_b32_e32 v2, 29
	v_cmp_eq_u16_sdwa s[24:25], v3, v2 src0_sel:BYTE_0 src1_sel:DWORD
	s_mov_b64 s[20:21], -1
	s_mov_b64 s[22:23], s[18:19]
                                        ; implicit-def: $vgpr2
	s_and_saveexec_b64 s[14:15], s[24:25]
	s_cbranch_execz .LBB22_16
; %bb.15:
	flat_load_dwordx2 v[2:3], v[0:1]
	s_or_b64 s[22:23], s[18:19], exec
	s_xor_b64 s[20:21], exec, -1
	s_waitcnt vmcnt(0) lgkmcnt(0)
	v_ffbh_u32_e32 v4, v3
	v_min_u32_e32 v4, 32, v4
	v_lshlrev_b64 v[2:3], v4, v[2:3]
	v_min_u32_e32 v2, 1, v2
	v_or_b32_e32 v2, v3, v2
	v_cvt_f32_u32_e32 v2, v2
	v_sub_u32_e32 v3, 32, v4
	v_ldexp_f32 v2, v2, v3
.LBB22_16:
	s_or_b64 exec, exec, s[14:15]
	s_andn2_b64 s[14:15], s[18:19], exec
	s_and_b64 s[18:19], s[22:23], exec
	s_or_b64 s[18:19], s[14:15], s[18:19]
	s_andn2_b64 s[14:15], s[16:17], exec
	s_and_b64 s[16:17], s[20:21], exec
	s_or_b64 s[16:17], s[14:15], s[16:17]
.LBB22_17:
	s_or_b64 exec, exec, s[12:13]
	s_and_b64 s[14:15], s[18:19], exec
	s_and_b64 s[12:13], s[16:17], exec
                                        ; implicit-def: $vgpr3
.LBB22_18:
	s_andn2_saveexec_b64 s[8:9], s[8:9]
	s_cbranch_execz .LBB22_34
; %bb.19:
	v_mov_b32_e32 v2, 26
	v_cmp_gt_i16_sdwa s[16:17], v3, v2 src0_sel:BYTE_0 src1_sel:DWORD
                                        ; implicit-def: $vgpr2
	s_and_saveexec_b64 s[18:19], s[16:17]
	s_xor_b64 s[16:17], exec, s[18:19]
	s_cbranch_execz .LBB22_25
; %bb.20:
	v_mov_b32_e32 v2, 27
	v_cmp_gt_i16_sdwa s[18:19], v3, v2 src0_sel:BYTE_0 src1_sel:DWORD
                                        ; implicit-def: $vgpr2
	s_and_saveexec_b64 s[20:21], s[18:19]
	s_xor_b64 s[18:19], exec, s[20:21]
	s_cbranch_execz .LBB22_22
; %bb.21:
	flat_load_dword v2, v[0:1]
	s_waitcnt vmcnt(0) lgkmcnt(0)
	v_cvt_f32_u32_e32 v2, v2
.LBB22_22:
	s_andn2_saveexec_b64 s[18:19], s[18:19]
	s_cbranch_execz .LBB22_24
; %bb.23:
	flat_load_ushort v2, v[0:1]
	s_waitcnt vmcnt(0) lgkmcnt(0)
	v_cvt_f32_u32_e32 v2, v2
.LBB22_24:
	s_or_b64 exec, exec, s[18:19]
.LBB22_25:
	s_andn2_saveexec_b64 s[16:17], s[16:17]
	s_cbranch_execz .LBB22_33
; %bb.26:
	flat_load_ubyte v3, v[0:1]
	s_movk_i32 s18, 0x7f
	s_waitcnt vmcnt(0) lgkmcnt(0)
	v_cmp_lt_i16_e32 vcc, s18, v3
	s_mov_b64 s[18:19], 0
	s_and_saveexec_b64 s[20:21], vcc
	s_xor_b64 s[20:21], exec, s[20:21]
	s_cbranch_execz .LBB22_131
; %bb.27:
	s_movk_i32 s18, 0x80
	v_cmp_eq_u16_e32 vcc, s18, v3
	s_mov_b64 s[18:19], -1
	s_and_saveexec_b64 s[22:23], vcc
; %bb.28:
	s_xor_b64 s[18:19], exec, -1
; %bb.29:
	s_or_b64 exec, exec, s[22:23]
	s_and_b64 s[18:19], s[18:19], exec
	s_or_saveexec_b64 s[20:21], s[20:21]
	v_mov_b32_e32 v2, 0x7f800001
	s_xor_b64 exec, exec, s[20:21]
	s_cbranch_execnz .LBB22_132
.LBB22_30:
	s_or_b64 exec, exec, s[20:21]
	s_and_saveexec_b64 s[20:21], s[18:19]
	s_cbranch_execz .LBB22_32
.LBB22_31:
	v_lshlrev_b32_e32 v2, 24, v3
	v_and_b32_e32 v3, 0xffff, v3
	v_and_b32_e32 v4, 7, v3
	v_ffbh_u32_e32 v6, v4
	v_min_u32_e32 v6, 32, v6
	v_subrev_u32_e32 v7, 28, v6
	v_bfe_u32 v5, v3, 3, 4
	v_lshlrev_b32_e32 v3, v7, v3
	v_sub_u32_e32 v6, 29, v6
	v_and_b32_e32 v3, 7, v3
	v_cmp_eq_u32_e32 vcc, 0, v5
	v_cndmask_b32_e32 v5, v5, v6, vcc
	v_cndmask_b32_e32 v3, v4, v3, vcc
	v_mov_b32_e32 v4, 0x3b800000
	v_lshlrev_b32_e32 v3, 20, v3
	v_and_b32_e32 v2, 0x80000000, v2
	v_lshl_add_u32 v4, v5, 23, v4
	v_or3_b32 v2, v2, v4, v3
.LBB22_32:
	s_or_b64 exec, exec, s[20:21]
.LBB22_33:
	s_or_b64 exec, exec, s[16:17]
	s_or_b64 s[14:15], s[14:15], exec
.LBB22_34:
	s_or_b64 exec, exec, s[8:9]
	s_and_b64 s[8:9], s[14:15], exec
	s_and_b64 s[12:13], s[12:13], exec
                                        ; implicit-def: $vgpr3
	s_andn2_saveexec_b64 s[10:11], s[10:11]
	s_cbranch_execnz .LBB22_97
.LBB22_35:
	s_or_b64 exec, exec, s[10:11]
	s_and_saveexec_b64 s[10:11], s[12:13]
	s_cbranch_execnz .LBB22_122
.LBB22_36:
	s_or_b64 exec, exec, s[10:11]
	s_and_saveexec_b64 s[10:11], s[6:7]
	s_xor_b64 s[6:7], exec, s[10:11]
	s_cbranch_execz .LBB22_38
.LBB22_37:
	flat_load_ubyte v0, v[0:1]
	s_or_b64 s[8:9], s[8:9], exec
	s_waitcnt vmcnt(0) lgkmcnt(0)
	v_cmp_ne_u16_e32 vcc, 0, v0
	v_cndmask_b32_e64 v2, 0, 1.0, vcc
.LBB22_38:
	s_or_b64 exec, exec, s[6:7]
	s_and_b64 s[6:7], s[8:9], exec
                                        ; implicit-def: $vgpr3
                                        ; implicit-def: $vgpr0_vgpr1
	s_andn2_saveexec_b64 s[4:5], s[4:5]
	s_cbranch_execnz .LBB22_54
.LBB22_39:
	s_or_b64 exec, exec, s[4:5]
                                        ; implicit-def: $vgpr0
	s_and_saveexec_b64 s[10:11], s[6:7]
	s_cbranch_execz .LBB22_95
.LBB22_40:
	s_mov_b32 s4, 0x40a00000
	s_waitcnt vmcnt(0) lgkmcnt(0)
	v_cmp_ge_f32_e32 vcc, s4, v2
                                        ; implicit-def: $vgpr0
	s_and_saveexec_b64 s[4:5], vcc
	s_xor_b64 s[6:7], exec, s[4:5]
	s_cbranch_execz .LBB22_50
; %bb.41:
	v_cmp_neq_f32_e32 vcc, 0, v2
	v_mov_b32_e32 v0, 0xff800000
	s_and_saveexec_b64 s[8:9], vcc
	s_cbranch_execz .LBB22_49
; %bb.42:
	v_cmp_ngt_f32_e32 vcc, 0, v2
	v_mov_b32_e32 v0, 0x7fc00000
	s_and_saveexec_b64 s[12:13], vcc
	s_cbranch_execz .LBB22_48
; %bb.43:
	v_mul_f32_e32 v0, v2, v2
	s_mov_b32 s4, 0x3727c5ac
	v_mul_f32_e32 v3, 0, v0
	v_cmp_ngt_f32_e32 vcc, s4, v2
                                        ; implicit-def: $vgpr1
	s_and_saveexec_b64 s[4:5], vcc
	s_xor_b64 s[4:5], exec, s[4:5]
	s_cbranch_execz .LBB22_45
; %bb.44:
	v_add_f32_e32 v1, 0xcf8ee29d, v3
	v_mov_b32_e32 v4, 0x53e3ba8e
	v_fmac_f32_e32 v4, v0, v1
	v_mov_b32_e32 v1, 0xd762b0a7
	v_fmac_f32_e32 v1, v0, v4
	v_add_f32_e32 v4, 0x43f9c815, v3
	v_mov_b32_e32 v5, 0x4829b65a
	v_fmac_f32_e32 v5, v0, v4
	v_mov_b32_e32 v4, 0x4c38c9a1
	v_fmac_f32_e32 v4, v0, v5
	;; [unrolled: 2-line block ×8, first 2 shown]
	v_add_f32_e32 v1, 0xc0b90fdc, v0
	v_add_f32_e32 v6, 0xc1f3c525, v0
	v_mul_f32_e32 v1, v1, v6
	v_mul_f32_e32 v1, v1, v4
	v_div_scale_f32 v4, s[14:15], v5, v5, v1
	v_div_scale_f32 v6, vcc, v1, v5, v1
	v_rcp_f32_e32 v7, v4
	v_fma_f32 v8, -v4, v7, 1.0
	v_fmac_f32_e32 v7, v8, v7
	v_mul_f32_e32 v8, v6, v7
	v_fma_f32 v9, -v4, v8, v6
	v_fmac_f32_e32 v8, v9, v7
	v_fma_f32 v4, -v4, v8, v6
	v_div_fmas_f32 v4, v4, v7, v8
	v_div_fixup_f32 v1, v4, v5, v1
.LBB22_45:
	s_andn2_saveexec_b64 s[4:5], s[4:5]
; %bb.46:
	s_mov_b32 s14, 0xbe800000
	v_fma_f32 v1, v0, s14, 1.0
; %bb.47:
	s_or_b64 exec, exec, s[4:5]
	v_add_f32_e32 v4, 0x4673a1bf, v3
	v_mov_b32_e32 v5, 0xcb5fc0fa
	v_fmac_f32_e32 v5, v0, v4
	v_mov_b32_e32 v4, 0x4fa1fbc8
	v_fmac_f32_e32 v4, v0, v5
	;; [unrolled: 2-line block ×6, first 2 shown]
	v_add_f32_e32 v3, 0x44822913, v3
	v_mov_b32_e32 v5, 0x4918dbb5
	v_fmac_f32_e32 v5, v0, v3
	v_mov_b32_e32 v3, 0x4d803b1b
	v_fmac_f32_e32 v3, v0, v5
	;; [unrolled: 2-line block ×7, first 2 shown]
	v_div_scale_f32 v0, s[4:5], v3, v3, v5
	v_div_scale_f32 v4, vcc, v5, v3, v5
	s_mov_b32 s4, 0x800000
	v_rcp_f32_e32 v6, v0
	v_fma_f32 v7, -v0, v6, 1.0
	v_fmac_f32_e32 v6, v7, v6
	v_mul_f32_e32 v7, v4, v6
	v_fma_f32 v8, -v0, v7, v4
	v_fmac_f32_e32 v7, v8, v6
	v_fma_f32 v0, -v0, v7, v4
	v_div_fmas_f32 v0, v0, v6, v7
	v_cmp_gt_f32_e32 vcc, s4, v2
	v_cndmask_b32_e64 v4, 0, 32, vcc
	v_ldexp_f32 v2, v2, v4
	v_log_f32_e32 v2, v2
	s_mov_b32 s4, 0x3f317217
	v_mul_f32_e32 v4, 0x3f317217, v2
	v_fma_f32 v4, v2, s4, -v4
	v_fmac_f32_e32 v4, 0x3377d1cf, v2
	s_mov_b32 s4, 0x7f800000
	v_fmac_f32_e32 v4, 0x3f317217, v2
	v_cmp_lt_f32_e64 s[4:5], |v2|, s4
	v_cndmask_b32_e64 v2, v2, v4, s[4:5]
	v_div_fixup_f32 v0, v0, v3, v5
	v_mov_b32_e32 v3, 0x41b17218
	v_cndmask_b32_e32 v3, 0, v3, vcc
	v_sub_f32_e32 v2, v2, v3
	v_mul_f32_e32 v2, 0x3f22f983, v2
	v_fmac_f32_e32 v0, v2, v1
.LBB22_48:
	s_or_b64 exec, exec, s[12:13]
.LBB22_49:
	s_or_b64 exec, exec, s[8:9]
                                        ; implicit-def: $vgpr2
.LBB22_50:
	s_andn2_saveexec_b64 s[12:13], s[6:7]
	s_cbranch_execz .LBB22_130
; %bb.51:
	v_add_f32_e32 v0, 0xbf490fdb, v2
	v_and_b32_e32 v1, 0x7fffffff, v0
	s_brev_b32 s4, 18
	v_cmp_nlt_f32_e64 s[14:15], |v0|, s4
	v_lshrrev_b32_e32 v7, 23, v1
                                        ; implicit-def: $vgpr3
                                        ; implicit-def: $vgpr4
	s_and_saveexec_b64 s[4:5], s[14:15]
	s_xor_b64 s[16:17], exec, s[4:5]
	s_cbranch_execz .LBB22_123
; %bb.52:
	v_and_b32_e32 v3, 0x7fffff, v1
	v_or_b32_e32 v6, 0x800000, v3
	s_mov_b32 s4, 0xfe5163ab
	v_mad_u64_u32 v[3:4], s[4:5], v6, s4, 0
	v_mov_b32_e32 v5, 0
	s_mov_b32 s4, 0x3c439041
	v_mad_u64_u32 v[8:9], s[4:5], v6, s4, v[4:5]
	s_mov_b32 s4, 0xdb629599
	v_add_u32_e32 v13, 0xffffff88, v7
	v_mov_b32_e32 v4, v9
	v_mad_u64_u32 v[9:10], s[4:5], v6, s4, v[4:5]
	s_mov_b32 s4, 0xf534ddc0
	v_not_b32_e32 v14, 63
	v_mov_b32_e32 v4, v10
	v_mad_u64_u32 v[10:11], s[4:5], v6, s4, v[4:5]
	s_mov_b32 s4, 0xfc2757d1
	v_cmp_lt_u32_e32 vcc, 63, v13
	v_mov_b32_e32 v4, v11
	v_mad_u64_u32 v[11:12], s[4:5], v6, s4, v[4:5]
	v_cndmask_b32_e32 v4, 0, v14, vcc
	v_add_u32_e32 v14, v4, v13
	v_mov_b32_e32 v4, v12
	s_mov_b32 s4, 0x4e441529
	v_mad_u64_u32 v[12:13], s[4:5], v6, s4, v[4:5]
	v_not_b32_e32 v15, 31
	v_cmp_lt_u32_e64 s[4:5], 31, v14
	v_cndmask_b32_e64 v4, 0, v15, s[4:5]
	v_add_u32_e32 v14, v4, v14
	v_mov_b32_e32 v4, v13
	s_mov_b32 s6, 0xa2f9836e
	v_mad_u64_u32 v[4:5], s[6:7], v6, s6, v[4:5]
	v_cmp_lt_u32_e64 s[6:7], 31, v14
	v_cndmask_b32_e64 v6, 0, v15, s[6:7]
	v_cndmask_b32_e32 v13, v12, v10, vcc
	v_cndmask_b32_e32 v4, v4, v11, vcc
	;; [unrolled: 1-line block ×3, first 2 shown]
	v_add_u32_e32 v6, v6, v14
	v_cndmask_b32_e64 v14, v4, v13, s[4:5]
	v_cndmask_b32_e64 v4, v5, v4, s[4:5]
	v_cndmask_b32_e32 v5, v11, v9, vcc
	v_cndmask_b32_e64 v11, v13, v5, s[4:5]
	v_cndmask_b32_e64 v4, v4, v14, s[6:7]
	;; [unrolled: 1-line block ×3, first 2 shown]
	v_sub_u32_e32 v13, 32, v6
	v_alignbit_b32 v14, v4, v12, v13
	v_cmp_eq_u32_e64 s[8:9], 0, v6
	v_cndmask_b32_e64 v6, v14, v4, s[8:9]
	v_cndmask_b32_e32 v4, v10, v8, vcc
	v_cndmask_b32_e64 v5, v5, v4, s[4:5]
	v_cndmask_b32_e64 v8, v11, v5, s[6:7]
	v_alignbit_b32 v10, v12, v8, v13
	v_cndmask_b32_e32 v3, v9, v3, vcc
	v_cndmask_b32_e64 v10, v10, v12, s[8:9]
	v_bfe_u32 v14, v6, 29, 1
	v_cndmask_b32_e64 v3, v4, v3, s[4:5]
	v_alignbit_b32 v11, v6, v10, 30
	v_sub_u32_e32 v15, 0, v14
	v_cndmask_b32_e64 v3, v5, v3, s[6:7]
	v_xor_b32_e32 v11, v11, v15
	v_alignbit_b32 v4, v8, v3, v13
	v_cndmask_b32_e64 v4, v4, v8, s[8:9]
	v_ffbh_u32_e32 v8, v11
	v_alignbit_b32 v5, v10, v4, 30
	v_min_u32_e32 v8, 32, v8
	v_alignbit_b32 v3, v4, v3, 30
	v_xor_b32_e32 v5, v5, v15
	v_sub_u32_e32 v9, 31, v8
	v_xor_b32_e32 v3, v3, v15
	v_alignbit_b32 v10, v11, v5, v9
	v_alignbit_b32 v3, v5, v3, v9
	;; [unrolled: 1-line block ×3, first 2 shown]
	v_ffbh_u32_e32 v5, v4
	v_min_u32_e32 v5, 32, v5
	v_lshrrev_b32_e32 v12, 29, v6
	v_not_b32_e32 v9, v5
	v_alignbit_b32 v3, v4, v3, v9
	v_lshlrev_b32_e32 v4, 31, v12
	v_or_b32_e32 v9, 0x33000000, v4
	v_add_lshl_u32 v5, v5, v8, 23
	v_lshrrev_b32_e32 v3, 9, v3
	v_sub_u32_e32 v5, v9, v5
	v_or_b32_e32 v4, 0.5, v4
	v_lshlrev_b32_e32 v8, 23, v8
	v_or_b32_e32 v3, v5, v3
	v_lshrrev_b32_e32 v5, 9, v10
	v_sub_u32_e32 v4, v4, v8
	v_or_b32_e32 v4, v5, v4
	s_mov_b32 s4, 0x3fc90fda
	v_mul_f32_e32 v5, 0x3fc90fda, v4
	v_fma_f32 v8, v4, s4, -v5
	v_fmac_f32_e32 v8, 0x33a22168, v4
	v_fmac_f32_e32 v8, 0x3fc90fda, v3
	v_lshrrev_b32_e32 v3, 30, v6
	v_add_f32_e32 v4, v5, v8
	v_add_u32_e32 v3, v14, v3
	s_andn2_saveexec_b64 s[4:5], s[16:17]
	s_cbranch_execz .LBB22_125
	s_branch .LBB22_124
.LBB22_53:
	s_andn2_saveexec_b64 s[4:5], s[4:5]
	s_cbranch_execz .LBB22_39
.LBB22_54:
	v_mov_b32_e32 v2, 4
	v_cmp_gt_i16_sdwa s[8:9], v3, v2 src0_sel:BYTE_0 src1_sel:DWORD
                                        ; implicit-def: $vgpr2
	s_and_saveexec_b64 s[10:11], s[8:9]
	s_xor_b64 s[8:9], exec, s[10:11]
	s_cbranch_execz .LBB22_76
; %bb.55:
	v_mov_b32_e32 v2, 7
	v_cmp_gt_i16_sdwa s[10:11], v3, v2 src0_sel:BYTE_0 src1_sel:DWORD
                                        ; implicit-def: $vgpr2
	s_and_saveexec_b64 s[12:13], s[10:11]
	s_xor_b64 s[10:11], exec, s[12:13]
	s_cbranch_execz .LBB22_65
; %bb.56:
	;; [unrolled: 7-line block ×4, first 2 shown]
	flat_load_dwordx2 v[0:1], v[0:1]
	s_waitcnt vmcnt(0) lgkmcnt(0)
	v_cvt_f32_f64_e32 v2, v[0:1]
                                        ; implicit-def: $vgpr0_vgpr1
.LBB22_59:
	s_andn2_saveexec_b64 s[14:15], s[14:15]
	s_cbranch_execz .LBB22_61
; %bb.60:
	flat_load_dword v2, v[0:1]
.LBB22_61:
	s_or_b64 exec, exec, s[14:15]
                                        ; implicit-def: $vgpr0_vgpr1
.LBB22_62:
	s_andn2_saveexec_b64 s[12:13], s[12:13]
	s_cbranch_execz .LBB22_64
; %bb.63:
	flat_load_dword v0, v[0:1]
	s_waitcnt vmcnt(0) lgkmcnt(0)
	v_cvt_f32_f16_e32 v2, v0
.LBB22_64:
	s_or_b64 exec, exec, s[12:13]
                                        ; implicit-def: $vgpr0_vgpr1
                                        ; implicit-def: $vgpr3
.LBB22_65:
	s_andn2_saveexec_b64 s[10:11], s[10:11]
	s_cbranch_execz .LBB22_75
; %bb.66:
	s_waitcnt vmcnt(0) lgkmcnt(0)
	v_mov_b32_e32 v2, 5
	v_cmp_gt_i16_sdwa s[12:13], v3, v2 src0_sel:BYTE_0 src1_sel:DWORD
                                        ; implicit-def: $vgpr2
	s_and_saveexec_b64 s[14:15], s[12:13]
	s_xor_b64 s[12:13], exec, s[14:15]
	s_cbranch_execz .LBB22_72
; %bb.67:
	v_mov_b32_e32 v2, 6
	v_cmp_gt_i16_sdwa s[14:15], v3, v2 src0_sel:BYTE_0 src1_sel:DWORD
                                        ; implicit-def: $vgpr2
	s_and_saveexec_b64 s[16:17], s[14:15]
	s_xor_b64 s[14:15], exec, s[16:17]
	s_cbranch_execz .LBB22_69
; %bb.68:
	flat_load_dwordx2 v[0:1], v[0:1]
	s_waitcnt vmcnt(0) lgkmcnt(0)
	v_cvt_f32_f64_e32 v2, v[0:1]
                                        ; implicit-def: $vgpr0_vgpr1
.LBB22_69:
	s_andn2_saveexec_b64 s[14:15], s[14:15]
	s_cbranch_execz .LBB22_71
; %bb.70:
	flat_load_dword v2, v[0:1]
.LBB22_71:
	s_or_b64 exec, exec, s[14:15]
                                        ; implicit-def: $vgpr0_vgpr1
.LBB22_72:
	s_andn2_saveexec_b64 s[12:13], s[12:13]
	s_cbranch_execz .LBB22_74
; %bb.73:
	flat_load_ushort v0, v[0:1]
	s_waitcnt vmcnt(0) lgkmcnt(0)
	v_cvt_f32_f16_e32 v2, v0
.LBB22_74:
	s_or_b64 exec, exec, s[12:13]
.LBB22_75:
	s_or_b64 exec, exec, s[10:11]
                                        ; implicit-def: $vgpr3
                                        ; implicit-def: $vgpr0_vgpr1
.LBB22_76:
	s_andn2_saveexec_b64 s[8:9], s[8:9]
	s_cbranch_execz .LBB22_94
; %bb.77:
	s_waitcnt vmcnt(0) lgkmcnt(0)
	v_mov_b32_e32 v2, 1
	v_cmp_gt_i16_sdwa s[10:11], v3, v2 src0_sel:BYTE_0 src1_sel:DWORD
                                        ; implicit-def: $vgpr2
	s_and_saveexec_b64 s[12:13], s[10:11]
	s_xor_b64 s[10:11], exec, s[12:13]
	s_cbranch_execz .LBB22_87
; %bb.78:
	v_mov_b32_e32 v2, 2
	v_cmp_gt_i16_sdwa s[12:13], v3, v2 src0_sel:BYTE_0 src1_sel:DWORD
                                        ; implicit-def: $vgpr2
	s_and_saveexec_b64 s[14:15], s[12:13]
	s_xor_b64 s[12:13], exec, s[14:15]
	s_cbranch_execz .LBB22_84
; %bb.79:
	;; [unrolled: 7-line block ×3, first 2 shown]
	flat_load_dwordx2 v[0:1], v[0:1]
	s_waitcnt vmcnt(0) lgkmcnt(0)
	v_xor_b32_e32 v3, v0, v1
	v_ffbh_i32_e32 v2, v1
	v_ashrrev_i32_e32 v3, 31, v3
	v_add_u32_e32 v2, -1, v2
	v_add_u32_e32 v3, 32, v3
	v_min_u32_e32 v2, v2, v3
	v_lshlrev_b64 v[0:1], v2, v[0:1]
	v_min_u32_e32 v0, 1, v0
	v_or_b32_e32 v0, v1, v0
	v_cvt_f32_i32_e32 v0, v0
	v_sub_u32_e32 v1, 32, v2
	v_ldexp_f32 v2, v0, v1
                                        ; implicit-def: $vgpr0_vgpr1
.LBB22_81:
	s_andn2_saveexec_b64 s[14:15], s[14:15]
	s_cbranch_execz .LBB22_83
; %bb.82:
	flat_load_dword v0, v[0:1]
	s_waitcnt vmcnt(0) lgkmcnt(0)
	v_cvt_f32_i32_e32 v2, v0
.LBB22_83:
	s_or_b64 exec, exec, s[14:15]
                                        ; implicit-def: $vgpr0_vgpr1
.LBB22_84:
	s_andn2_saveexec_b64 s[12:13], s[12:13]
	s_cbranch_execz .LBB22_86
; %bb.85:
	flat_load_sshort v0, v[0:1]
	s_waitcnt vmcnt(0) lgkmcnt(0)
	v_cvt_f32_i32_e32 v2, v0
.LBB22_86:
	s_or_b64 exec, exec, s[12:13]
                                        ; implicit-def: $vgpr0_vgpr1
                                        ; implicit-def: $vgpr3
.LBB22_87:
	s_andn2_saveexec_b64 s[10:11], s[10:11]
	s_cbranch_execz .LBB22_93
; %bb.88:
	v_mov_b32_e32 v2, 0
	v_cmp_gt_i16_sdwa s[12:13], v3, v2 src0_sel:BYTE_0 src1_sel:DWORD
                                        ; implicit-def: $vgpr2
	s_and_saveexec_b64 s[14:15], s[12:13]
	s_xor_b64 s[12:13], exec, s[14:15]
	s_cbranch_execz .LBB22_90
; %bb.89:
	flat_load_sbyte v0, v[0:1]
	s_waitcnt vmcnt(0) lgkmcnt(0)
	v_cvt_f32_i32_e32 v2, v0
                                        ; implicit-def: $vgpr0_vgpr1
.LBB22_90:
	s_andn2_saveexec_b64 s[12:13], s[12:13]
	s_cbranch_execz .LBB22_92
; %bb.91:
	flat_load_ubyte v0, v[0:1]
	s_waitcnt vmcnt(0) lgkmcnt(0)
	v_cvt_f32_ubyte0_e32 v2, v0
.LBB22_92:
	s_or_b64 exec, exec, s[12:13]
.LBB22_93:
	s_or_b64 exec, exec, s[10:11]
.LBB22_94:
	s_or_b64 exec, exec, s[8:9]
	s_or_b64 s[6:7], s[6:7], exec
	s_or_b64 exec, exec, s[4:5]
                                        ; implicit-def: $vgpr0
	s_and_saveexec_b64 s[10:11], s[6:7]
	s_cbranch_execnz .LBB22_40
.LBB22_95:
	s_or_b64 exec, exec, s[10:11]
	s_waitcnt vmcnt(0) lgkmcnt(0)
	s_setpc_b64 s[30:31]
.LBB22_96:
	s_andn2_saveexec_b64 s[10:11], s[10:11]
	s_cbranch_execz .LBB22_35
.LBB22_97:
	v_mov_b32_e32 v2, 22
	v_cmp_gt_i16_sdwa s[6:7], v3, v2 src0_sel:BYTE_0 src1_sel:DWORD
	s_mov_b64 s[14:15], s[8:9]
                                        ; implicit-def: $vgpr2
	s_and_saveexec_b64 s[16:17], s[6:7]
	s_xor_b64 s[6:7], exec, s[16:17]
	s_cbranch_execz .LBB22_113
; %bb.98:
	v_mov_b32_e32 v2, 23
	v_cmp_gt_i16_sdwa s[14:15], v3, v2 src0_sel:BYTE_0 src1_sel:DWORD
                                        ; implicit-def: $vgpr2
	s_and_saveexec_b64 s[16:17], s[14:15]
	s_xor_b64 s[14:15], exec, s[16:17]
	s_cbranch_execz .LBB22_110
; %bb.99:
	v_mov_b32_e32 v2, 24
	v_cmp_gt_i16_sdwa s[16:17], v3, v2 src0_sel:BYTE_0 src1_sel:DWORD
                                        ; implicit-def: $vgpr2
	s_and_saveexec_b64 s[18:19], s[16:17]
	s_xor_b64 s[16:17], exec, s[18:19]
	s_cbranch_execz .LBB22_107
; %bb.100:
	flat_load_ubyte v3, v[0:1]
	s_movk_i32 s18, 0x7f
	s_waitcnt vmcnt(0) lgkmcnt(0)
	v_cmp_lt_i16_e32 vcc, s18, v3
	s_mov_b64 s[18:19], 0
	s_and_saveexec_b64 s[20:21], vcc
	s_xor_b64 s[20:21], exec, s[20:21]
	s_cbranch_execz .LBB22_133
; %bb.101:
	s_movk_i32 s18, 0x80
	v_cmp_eq_u16_e32 vcc, s18, v3
	s_mov_b64 s[18:19], -1
	s_and_saveexec_b64 s[22:23], vcc
; %bb.102:
	s_xor_b64 s[18:19], exec, -1
; %bb.103:
	s_or_b64 exec, exec, s[22:23]
	s_and_b64 s[18:19], s[18:19], exec
	s_or_saveexec_b64 s[20:21], s[20:21]
	v_mov_b32_e32 v2, 0x7f800001
	s_xor_b64 exec, exec, s[20:21]
	s_cbranch_execnz .LBB22_134
.LBB22_104:
	s_or_b64 exec, exec, s[20:21]
	s_and_saveexec_b64 s[20:21], s[18:19]
	s_cbranch_execz .LBB22_106
.LBB22_105:
	v_lshlrev_b32_e32 v2, 24, v3
	v_and_b32_e32 v3, 0xffff, v3
	v_and_b32_e32 v4, 3, v3
	v_ffbh_u32_e32 v6, v4
	v_min_u32_e32 v6, 32, v6
	v_subrev_u32_e32 v7, 29, v6
	v_bfe_u32 v5, v3, 2, 5
	v_lshlrev_b32_e32 v3, v7, v3
	v_sub_u32_e32 v6, 30, v6
	v_and_b32_e32 v3, 3, v3
	v_cmp_eq_u32_e32 vcc, 0, v5
	v_cndmask_b32_e32 v5, v5, v6, vcc
	v_cndmask_b32_e32 v3, v4, v3, vcc
	v_mov_b32_e32 v4, 0x37800000
	v_lshlrev_b32_e32 v3, 21, v3
	v_and_b32_e32 v2, 0x80000000, v2
	v_lshl_add_u32 v4, v5, 23, v4
	v_or3_b32 v2, v2, v4, v3
.LBB22_106:
	s_or_b64 exec, exec, s[20:21]
.LBB22_107:
	s_andn2_saveexec_b64 s[16:17], s[16:17]
	s_cbranch_execz .LBB22_109
; %bb.108:
	flat_load_ubyte v2, v[0:1]
	s_mov_b32 s18, 0x7f800000
	s_waitcnt vmcnt(0) lgkmcnt(0)
	v_lshlrev_b32_e32 v2, 24, v2
	v_and_b32_e32 v3, 0x7f000000, v2
	v_ffbh_u32_e32 v4, v3
	v_min_u32_e32 v4, 32, v4
	v_sub_u32_e64 v4, v4, 4 clamp
	v_lshlrev_b32_e32 v6, v4, v3
	v_lshlrev_b32_e32 v4, 23, v4
	v_lshrrev_b32_e32 v6, 4, v6
	v_add_u32_e32 v5, 0x1000000, v3
	v_sub_u32_e32 v4, v6, v4
	v_ashrrev_i32_e32 v5, 8, v5
	v_add_u32_e32 v4, 0x3c000000, v4
	v_and_or_b32 v4, v5, s18, v4
	v_cmp_ne_u32_e32 vcc, 0, v3
	v_cndmask_b32_e32 v3, 0, v4, vcc
	s_brev_b32 s18, 1
	v_and_or_b32 v2, v2, s18, v3
.LBB22_109:
	s_or_b64 exec, exec, s[16:17]
.LBB22_110:
	s_andn2_saveexec_b64 s[14:15], s[14:15]
	s_cbranch_execz .LBB22_112
; %bb.111:
	flat_load_ubyte v2, v[0:1]
	s_movk_i32 s16, 0x7f00
	s_brev_b32 s17, 16
	s_waitcnt vmcnt(0) lgkmcnt(0)
	v_lshlrev_b16_e32 v3, 8, v2
	v_lshlrev_b32_e32 v2, 25, v2
	v_lshrrev_b32_e32 v4, 4, v2
	v_and_or_b32 v5, v3, s16, 0.5
	v_or_b32_e32 v4, 0x70000000, v4
	v_add_f32_e32 v5, -0.5, v5
	v_mul_f32_e32 v4, 0x7800000, v4
	v_cmp_gt_u32_e32 vcc, s17, v2
	v_bfe_i32 v3, v3, 0, 16
	v_cndmask_b32_e32 v2, v4, v5, vcc
	s_brev_b32 s16, 1
	v_and_or_b32 v2, v3, s16, v2
.LBB22_112:
	s_or_b64 exec, exec, s[14:15]
	s_or_b64 s[14:15], s[8:9], exec
                                        ; implicit-def: $vgpr3
.LBB22_113:
	s_or_saveexec_b64 s[6:7], s[6:7]
	s_mov_b64 s[18:19], 0
	s_mov_b64 s[16:17], s[12:13]
	s_xor_b64 exec, exec, s[6:7]
	s_cbranch_execz .LBB22_121
; %bb.114:
	v_mov_b32_e32 v2, 14
	v_cmp_gt_i16_sdwa s[20:21], v3, v2 src0_sel:BYTE_0 src1_sel:DWORD
	s_mov_b64 s[16:17], s[12:13]
	s_mov_b64 s[18:19], s[14:15]
                                        ; implicit-def: $vgpr2
	s_and_saveexec_b64 s[22:23], s[20:21]
	s_xor_b64 s[20:21], exec, s[22:23]
	s_cbranch_execz .LBB22_118
; %bb.115:
	v_mov_b32_e32 v2, 15
	v_cmp_eq_u16_sdwa s[24:25], v3, v2 src0_sel:BYTE_0 src1_sel:DWORD
	s_mov_b64 s[16:17], -1
	s_mov_b64 s[18:19], s[14:15]
                                        ; implicit-def: $vgpr2
	s_and_saveexec_b64 s[22:23], s[24:25]
	s_cbranch_execz .LBB22_117
; %bb.116:
	flat_load_ushort v2, v[0:1]
	s_or_b64 s[18:19], s[14:15], exec
	s_xor_b64 s[16:17], exec, -1
	s_waitcnt vmcnt(0) lgkmcnt(0)
	v_lshlrev_b32_e32 v2, 16, v2
.LBB22_117:
	s_or_b64 exec, exec, s[22:23]
	s_andn2_b64 s[22:23], s[14:15], exec
	s_and_b64 s[18:19], s[18:19], exec
	s_or_b64 s[18:19], s[22:23], s[18:19]
	s_andn2_b64 s[22:23], s[12:13], exec
	s_and_b64 s[16:17], s[16:17], exec
	s_or_b64 s[16:17], s[22:23], s[16:17]
                                        ; implicit-def: $vgpr3
.LBB22_118:
	s_or_saveexec_b64 s[20:21], s[20:21]
	s_mov_b64 s[22:23], 0
	s_xor_b64 exec, exec, s[20:21]
; %bb.119:
	v_mov_b32_e32 v4, 11
	v_cmp_ne_u16_sdwa s[24:25], v3, v4 src0_sel:BYTE_0 src1_sel:DWORD
	s_andn2_b64 s[16:17], s[16:17], exec
	s_and_b64 s[24:25], s[24:25], exec
	s_mov_b64 s[22:23], exec
	s_or_b64 s[16:17], s[16:17], s[24:25]
; %bb.120:
	s_or_b64 exec, exec, s[20:21]
	s_andn2_b64 s[14:15], s[14:15], exec
	s_and_b64 s[18:19], s[18:19], exec
	s_andn2_b64 s[20:21], s[12:13], exec
	s_and_b64 s[16:17], s[16:17], exec
	s_or_b64 s[14:15], s[14:15], s[18:19]
	s_and_b64 s[18:19], s[22:23], exec
	s_or_b64 s[16:17], s[20:21], s[16:17]
.LBB22_121:
	s_or_b64 exec, exec, s[6:7]
	s_andn2_b64 s[6:7], s[8:9], exec
	s_and_b64 s[8:9], s[14:15], exec
	s_andn2_b64 s[12:13], s[12:13], exec
	s_and_b64 s[14:15], s[16:17], exec
	s_or_b64 s[8:9], s[6:7], s[8:9]
	s_and_b64 s[6:7], s[18:19], exec
	s_or_b64 s[12:13], s[12:13], s[14:15]
	s_or_b64 exec, exec, s[10:11]
	s_and_saveexec_b64 s[10:11], s[12:13]
	s_cbranch_execz .LBB22_36
.LBB22_122:
	s_trap 2
	; divergent unreachable
	s_andn2_b64 s[6:7], s[6:7], exec
	s_or_b64 exec, exec, s[10:11]
	s_and_saveexec_b64 s[10:11], s[6:7]
	s_xor_b64 s[6:7], exec, s[10:11]
	s_cbranch_execnz .LBB22_37
	s_branch .LBB22_38
.LBB22_123:
	s_andn2_saveexec_b64 s[4:5], s[16:17]
	s_cbranch_execz .LBB22_125
.LBB22_124:
	s_mov_b32 s6, 0x3f22f983
	v_mul_f32_e64 v3, |v0|, s6
	v_rndne_f32_e32 v5, v3
	s_mov_b32 s6, 0xbfc90fda
	v_cvt_i32_f32_e32 v3, v5
	v_fma_f32 v4, v5, s6, |v0|
	v_fmac_f32_e32 v4, 0xb3a22168, v5
	v_fmac_f32_e32 v4, 0xa7c234c4, v5
.LBB22_125:
	s_or_b64 exec, exec, s[4:5]
                                        ; implicit-def: $vgpr5
                                        ; implicit-def: $vgpr6
	s_and_saveexec_b64 s[4:5], s[14:15]
	s_xor_b64 s[14:15], exec, s[4:5]
	s_cbranch_execz .LBB22_127
; %bb.126:
	v_and_b32_e32 v5, 0x7fffff, v1
	v_or_b32_e32 v14, 0x800000, v5
	s_mov_b32 s4, 0xfe5163ab
	v_mad_u64_u32 v[5:6], s[4:5], v14, s4, 0
	v_mov_b32_e32 v9, 0
	s_mov_b32 s4, 0x3c439041
	v_mov_b32_e32 v8, v6
	v_mad_u64_u32 v[10:11], s[4:5], v14, s4, v[8:9]
	s_mov_b32 s4, 0xdb629599
	v_add_u32_e32 v15, 0xffffff88, v7
	v_mov_b32_e32 v8, v11
	v_mad_u64_u32 v[11:12], s[4:5], v14, s4, v[8:9]
	s_mov_b32 s4, 0xf534ddc0
	v_not_b32_e32 v16, 63
	v_mov_b32_e32 v8, v12
	v_mad_u64_u32 v[12:13], s[4:5], v14, s4, v[8:9]
	s_mov_b32 s4, 0xfc2757d1
	v_cmp_lt_u32_e32 vcc, 63, v15
	v_mov_b32_e32 v8, v13
	v_mad_u64_u32 v[6:7], s[4:5], v14, s4, v[8:9]
	v_cndmask_b32_e32 v8, 0, v16, vcc
	v_add_u32_e32 v13, v8, v15
	v_mov_b32_e32 v8, v7
	s_mov_b32 s4, 0x4e441529
	v_mad_u64_u32 v[7:8], s[4:5], v14, s4, v[8:9]
	v_not_b32_e32 v15, 31
	v_cmp_lt_u32_e64 s[4:5], 31, v13
	s_mov_b32 s6, 0xa2f9836e
	v_cndmask_b32_e64 v16, 0, v15, s[4:5]
	v_mad_u64_u32 v[8:9], s[6:7], v14, s6, v[8:9]
	v_add_u32_e32 v13, v16, v13
	v_cmp_lt_u32_e64 s[6:7], 31, v13
	v_cndmask_b32_e64 v14, 0, v15, s[6:7]
	v_add_u32_e32 v13, v14, v13
	v_cndmask_b32_e32 v14, v7, v12, vcc
	v_cndmask_b32_e32 v8, v8, v6, vcc
	;; [unrolled: 1-line block ×4, first 2 shown]
	v_cndmask_b32_e64 v15, v8, v14, s[4:5]
	v_cndmask_b32_e64 v7, v7, v8, s[4:5]
	;; [unrolled: 1-line block ×3, first 2 shown]
	v_cndmask_b32_e32 v10, v12, v10, vcc
	v_cndmask_b32_e64 v7, v7, v15, s[6:7]
	v_cndmask_b32_e64 v9, v15, v8, s[6:7]
	v_sub_u32_e32 v14, 32, v13
	v_cndmask_b32_e64 v6, v6, v10, s[4:5]
	v_alignbit_b32 v15, v7, v9, v14
	v_cmp_eq_u32_e64 s[8:9], 0, v13
	v_cndmask_b32_e64 v8, v8, v6, s[6:7]
	v_cndmask_b32_e32 v5, v11, v5, vcc
	v_cndmask_b32_e64 v7, v15, v7, s[8:9]
	v_alignbit_b32 v12, v9, v8, v14
	v_cndmask_b32_e64 v5, v10, v5, s[4:5]
	v_cndmask_b32_e64 v9, v12, v9, s[8:9]
	v_bfe_u32 v15, v7, 29, 1
	v_cndmask_b32_e64 v5, v6, v5, s[6:7]
	v_alignbit_b32 v12, v7, v9, 30
	v_sub_u32_e32 v16, 0, v15
	v_alignbit_b32 v6, v8, v5, v14
	v_xor_b32_e32 v12, v12, v16
	v_cndmask_b32_e64 v6, v6, v8, s[8:9]
	v_alignbit_b32 v8, v9, v6, 30
	v_ffbh_u32_e32 v9, v12
	v_min_u32_e32 v9, 32, v9
	v_alignbit_b32 v5, v6, v5, 30
	v_xor_b32_e32 v8, v8, v16
	v_sub_u32_e32 v10, 31, v9
	v_xor_b32_e32 v5, v5, v16
	v_alignbit_b32 v11, v12, v8, v10
	v_alignbit_b32 v5, v8, v5, v10
	;; [unrolled: 1-line block ×3, first 2 shown]
	v_ffbh_u32_e32 v8, v6
	v_min_u32_e32 v8, 32, v8
	v_lshrrev_b32_e32 v13, 29, v7
	v_not_b32_e32 v10, v8
	v_alignbit_b32 v5, v6, v5, v10
	v_lshlrev_b32_e32 v6, 31, v13
	v_or_b32_e32 v10, 0x33000000, v6
	v_add_lshl_u32 v8, v8, v9, 23
	v_lshrrev_b32_e32 v5, 9, v5
	v_sub_u32_e32 v8, v10, v8
	v_or_b32_e32 v6, 0.5, v6
	v_lshlrev_b32_e32 v9, 23, v9
	v_or_b32_e32 v5, v8, v5
	v_lshrrev_b32_e32 v8, 9, v11
	v_sub_u32_e32 v6, v6, v9
	v_or_b32_e32 v6, v8, v6
	s_mov_b32 s4, 0x3fc90fda
	v_mul_f32_e32 v8, 0x3fc90fda, v6
	v_fma_f32 v9, v6, s4, -v8
	v_fmac_f32_e32 v9, 0x33a22168, v6
	v_fmac_f32_e32 v9, 0x3fc90fda, v5
	v_lshrrev_b32_e32 v5, 30, v7
	v_add_f32_e32 v6, v8, v9
	v_add_u32_e32 v5, v15, v5
	s_andn2_saveexec_b64 s[4:5], s[14:15]
	s_cbranch_execnz .LBB22_128
	s_branch .LBB22_129
.LBB22_127:
	s_andn2_saveexec_b64 s[4:5], s[14:15]
	s_cbranch_execz .LBB22_129
.LBB22_128:
	s_mov_b32 s6, 0x3f22f983
	v_mul_f32_e64 v5, |v0|, s6
	v_rndne_f32_e32 v7, v5
	s_mov_b32 s6, 0xbfc90fda
	v_cvt_i32_f32_e32 v5, v7
	v_fma_f32 v6, v7, s6, |v0|
	v_fmac_f32_e32 v6, 0xb3a22168, v7
	v_fmac_f32_e32 v6, 0xa7c234c4, v7
.LBB22_129:
	s_or_b64 exec, exec, s[4:5]
	v_mul_f32_e32 v7, v2, v2
	s_mov_b32 s6, 0x41c80000
	v_div_scale_f32 v8, s[4:5], v7, v7, s6
	v_div_scale_f32 v9, vcc, s6, v7, s6
	v_mov_b32_e32 v15, 0x3a725406
	v_mov_b32_e32 v16, 0x3daf5e2d
	;; [unrolled: 1-line block ×7, first 2 shown]
	v_xor_b32_e32 v1, v1, v0
	v_rcp_f32_e32 v10, v8
	v_fma_f32 v11, -v8, v10, 1.0
	v_fmac_f32_e32 v10, v11, v10
	v_mul_f32_e32 v11, v9, v10
	v_fma_f32 v12, -v8, v11, v9
	v_fmac_f32_e32 v11, v12, v10
	v_fma_f32 v8, -v8, v11, v9
	v_div_fmas_f32 v8, v8, v10, v11
	v_mov_b32_e32 v9, 0x3a50e985
	v_mov_b32_e32 v10, 0x3da9a586
	;; [unrolled: 1-line block ×4, first 2 shown]
	v_div_fixup_f32 v7, v8, v7, s6
	v_fmac_f32_e32 v9, 0, v7
	v_fmac_f32_e32 v15, 0, v7
	;; [unrolled: 1-line block ×8, first 2 shown]
	v_mov_b32_e32 v8, 0x40a9cb2f
	v_fmac_f32_e32 v13, v7, v12
	v_fmac_f32_e32 v19, v7, v18
	;; [unrolled: 1-line block ×4, first 2 shown]
	v_fma_f32 v8, v7, v8, 1.0
	v_fma_f32 v9, v7, v14, 1.0
	v_div_scale_f32 v10, s[4:5], v8, v8, v9
	v_div_scale_f32 v11, vcc, v9, v8, v9
	v_mov_b32_e32 v12, 0xbc3a3a12
	v_mov_b32_e32 v13, 0xbfa429da
	v_fmac_f32_e32 v12, 0, v7
	v_mov_b32_e32 v15, 0xc19c6e80
	v_fmac_f32_e32 v13, v7, v12
	;; [unrolled: 2-line block ×4, first 2 shown]
	s_mov_b32 s6, 0x40a00000
	v_fmac_f32_e32 v17, v7, v16
	v_div_scale_f32 v16, s[4:5], v2, v2, s6
	v_rcp_f32_e32 v14, v10
	v_mov_b32_e32 v12, 0x44561b86
	v_mov_b32_e32 v13, 0x45e243be
	;; [unrolled: 1-line block ×3, first 2 shown]
	v_fma_f32 v18, -v10, v14, 1.0
	v_fmac_f32_e32 v14, v18, v14
	v_mul_f32_e32 v18, v11, v14
	v_fma_f32 v19, -v10, v18, v11
	v_fmac_f32_e32 v18, v19, v14
	v_fma_f32 v10, -v10, v18, v11
	v_div_fmas_f32 v10, v10, v14, v18
	v_mov_b32_e32 v18, 0x4280a2ba
	v_fmac_f32_e32 v18, 0, v7
	v_fmac_f32_e32 v12, v7, v18
	v_mov_b32_e32 v18, 0x4572a66e
	v_fmac_f32_e32 v18, v7, v12
	v_mov_b32_e32 v12, 0x45b955d1
	;; [unrolled: 2-line block ×4, first 2 shown]
	v_fmac_f32_e32 v19, v7, v17
	v_fmac_f32_e32 v15, v7, v12
	v_div_scale_f32 v12, vcc, s6, v2, s6
	v_mov_b32_e32 v14, 0xc0c19ac7
	v_mov_b32_e32 v18, 0x43720178
	v_fmac_f32_e32 v11, v7, v19
	v_fmac_f32_e32 v18, v7, v15
	v_fmac_f32_e32 v14, v7, v11
	v_div_fixup_f32 v7, v10, v8, v9
	v_div_scale_f32 v8, s[4:5], v18, v18, v14
	v_div_scale_f32 v15, s[4:5], v14, v18, v14
	v_mul_f32_e32 v13, v4, v4
	v_mov_b32_e32 v9, 0x3c0881c4
	v_rcp_f32_e32 v11, v16
	v_fmac_f32_e32 v9, 0xb94c1982, v13
	v_mov_b32_e32 v10, 0xbe2aaa9d
	v_fma_f32 v9, v13, v9, v10
	v_mul_f32_e32 v9, v13, v9
	v_fmac_f32_e32 v4, v4, v9
	v_fma_f32 v9, -v16, v11, 1.0
	v_fmac_f32_e32 v11, v9, v11
	v_mul_f32_e32 v9, v12, v11
	v_fma_f32 v19, -v16, v9, v12
	v_fmac_f32_e32 v9, v19, v11
	v_fma_f32 v12, -v16, v9, v12
	v_rcp_f32_e32 v16, v8
	v_div_fmas_f32 v9, v12, v11, v9
	s_mov_b64 vcc, s[4:5]
	s_movk_i32 s4, 0x1f8
	v_fma_f32 v11, -v8, v16, 1.0
	v_fmac_f32_e32 v16, v11, v16
	v_mul_f32_e32 v11, v15, v16
	v_fma_f32 v12, -v8, v11, v15
	v_fmac_f32_e32 v11, v12, v16
	v_fma_f32 v8, -v8, v11, v15
	v_div_fmas_f32 v8, v8, v16, v11
	v_mov_b32_e32 v12, 0xbab64f3b
	v_fmac_f32_e32 v12, 0x37d75334, v13
	v_mov_b32_e32 v15, 0x3d2aabf7
	v_fma_f32 v12, v13, v12, v15
	v_mov_b32_e32 v11, 0xbf000004
	v_fma_f32 v12, v13, v12, v11
	v_fma_f32 v12, v13, v12, 1.0
	v_and_b32_e32 v13, 1, v3
	v_lshlrev_b32_e32 v3, 30, v3
	v_cmp_eq_u32_e32 vcc, 0, v13
	v_and_b32_e32 v3, 0x80000000, v3
	v_cndmask_b32_e32 v4, v12, v4, vcc
	v_xor_b32_e32 v1, v1, v3
	v_xor_b32_e32 v1, v1, v4
	v_mov_b32_e32 v3, 0x7fc00000
	v_cmp_class_f32_e64 vcc, v0, s4
	v_cndmask_b32_e32 v0, v3, v1, vcc
	v_div_fixup_f32 v1, v9, v2, s6
	v_div_fixup_f32 v4, v8, v18, v14
	v_mov_b32_e32 v17, 0x3c0881c4
	v_mul_f32_e32 v1, v1, v4
	v_mul_f32_e32 v4, v6, v6
	v_mov_b32_e32 v19, 0xbab64f3b
	v_fmac_f32_e32 v17, 0xb94c1982, v4
	v_fmac_f32_e32 v10, v4, v17
	;; [unrolled: 1-line block ×3, first 2 shown]
	v_mul_f32_e32 v8, v4, v10
	v_fmac_f32_e32 v15, v4, v19
	v_fmac_f32_e32 v6, v6, v8
	;; [unrolled: 1-line block ×3, first 2 shown]
	v_and_b32_e32 v8, 1, v5
	v_fma_f32 v4, v4, v11, 1.0
	v_cmp_eq_u32_e64 s[4:5], 0, v8
	v_lshlrev_b32_e32 v5, 30, v5
	v_cndmask_b32_e64 v4, -v6, v4, s[4:5]
	v_and_b32_e32 v5, 0x80000000, v5
	v_xor_b32_e32 v4, v5, v4
	s_mov_b32 s4, 0xf800000
	v_cndmask_b32_e32 v3, v3, v4, vcc
	v_mul_f32_e32 v4, 0x4f800000, v2
	v_cmp_gt_f32_e32 vcc, s4, v2
	v_cndmask_b32_e32 v2, v2, v4, vcc
	v_sqrt_f32_e32 v4, v2
	v_mul_f32_e32 v1, v1, v3
	v_fmac_f32_e32 v1, v7, v0
	v_mul_f32_e32 v0, 0x3f4c422a, v1
	v_add_u32_e32 v1, -1, v4
	v_fma_f32 v3, -v1, v4, v2
	v_cmp_ge_f32_e64 s[4:5], 0, v3
	v_add_u32_e32 v3, 1, v4
	v_cndmask_b32_e64 v1, v4, v1, s[4:5]
	v_fma_f32 v4, -v3, v4, v2
	v_cmp_lt_f32_e64 s[4:5], 0, v4
	v_cndmask_b32_e64 v1, v1, v3, s[4:5]
	v_mul_f32_e32 v3, 0x37800000, v1
	v_cndmask_b32_e32 v1, v1, v3, vcc
	v_mov_b32_e32 v3, 0x260
	v_cmp_class_f32_e32 vcc, v2, v3
	v_cndmask_b32_e32 v1, v1, v2, vcc
	v_div_scale_f32 v2, s[4:5], v1, v1, v0
	v_div_scale_f32 v3, vcc, v0, v1, v0
	v_rcp_f32_e32 v4, v2
	v_fma_f32 v5, -v2, v4, 1.0
	v_fmac_f32_e32 v4, v5, v4
	v_mul_f32_e32 v5, v3, v4
	v_fma_f32 v6, -v2, v5, v3
	v_fmac_f32_e32 v5, v6, v4
	v_fma_f32 v2, -v2, v5, v3
	v_div_fmas_f32 v2, v2, v4, v5
	v_div_fixup_f32 v0, v2, v1, v0
.LBB22_130:
	s_or_b64 exec, exec, s[12:13]
	s_or_b64 exec, exec, s[10:11]
	s_setpc_b64 s[30:31]
.LBB22_131:
	s_or_saveexec_b64 s[20:21], s[20:21]
	v_mov_b32_e32 v2, 0x7f800001
	s_xor_b64 exec, exec, s[20:21]
	s_cbranch_execz .LBB22_30
.LBB22_132:
	v_cmp_ne_u16_e32 vcc, 0, v3
	s_andn2_b64 s[18:19], s[18:19], exec
	s_and_b64 s[22:23], vcc, exec
	v_mov_b32_e32 v2, 0
	s_or_b64 s[18:19], s[18:19], s[22:23]
	s_or_b64 exec, exec, s[20:21]
	s_and_saveexec_b64 s[20:21], s[18:19]
	s_cbranch_execnz .LBB22_31
	s_branch .LBB22_32
.LBB22_133:
	s_or_saveexec_b64 s[20:21], s[20:21]
	v_mov_b32_e32 v2, 0x7f800001
	s_xor_b64 exec, exec, s[20:21]
	s_cbranch_execz .LBB22_104
.LBB22_134:
	v_cmp_ne_u16_e32 vcc, 0, v3
	s_andn2_b64 s[18:19], s[18:19], exec
	s_and_b64 s[22:23], vcc, exec
	v_mov_b32_e32 v2, 0
	s_or_b64 s[18:19], s[18:19], s[22:23]
	s_or_b64 exec, exec, s[20:21]
	s_and_saveexec_b64 s[20:21], s[18:19]
	s_cbranch_execnz .LBB22_105
	s_branch .LBB22_106
.Lfunc_end22:
	.size	_ZN2at6native6invokeIZZZNS0_12_GLOBAL__N_121bessel_y0_kernel_cudaERNS_18TensorIteratorBaseEENKUlvE_clEvENKUlvE0_clEvEUlfE_j15function_traitsIS7_EEENT1_11result_typeERKT_PrKPcPKT0_PKN3c1010ScalarTypeEi, .Lfunc_end22-_ZN2at6native6invokeIZZZNS0_12_GLOBAL__N_121bessel_y0_kernel_cudaERNS_18TensorIteratorBaseEENKUlvE_clEvENKUlvE0_clEvEUlfE_j15function_traitsIS7_EEENT1_11result_typeERKT_PrKPcPKT0_PKN3c1010ScalarTypeEi
                                        ; -- End function
	.set .L_ZN2at6native6invokeIZZZNS0_12_GLOBAL__N_121bessel_y0_kernel_cudaERNS_18TensorIteratorBaseEENKUlvE_clEvENKUlvE0_clEvEUlfE_j15function_traitsIS7_EEENT1_11result_typeERKT_PrKPcPKT0_PKN3c1010ScalarTypeEi.num_vgpr, 20
	.set .L_ZN2at6native6invokeIZZZNS0_12_GLOBAL__N_121bessel_y0_kernel_cudaERNS_18TensorIteratorBaseEENKUlvE_clEvENKUlvE0_clEvEUlfE_j15function_traitsIS7_EEENT1_11result_typeERKT_PrKPcPKT0_PKN3c1010ScalarTypeEi.num_agpr, 0
	.set .L_ZN2at6native6invokeIZZZNS0_12_GLOBAL__N_121bessel_y0_kernel_cudaERNS_18TensorIteratorBaseEENKUlvE_clEvENKUlvE0_clEvEUlfE_j15function_traitsIS7_EEENT1_11result_typeERKT_PrKPcPKT0_PKN3c1010ScalarTypeEi.numbered_sgpr, 32
	.set .L_ZN2at6native6invokeIZZZNS0_12_GLOBAL__N_121bessel_y0_kernel_cudaERNS_18TensorIteratorBaseEENKUlvE_clEvENKUlvE0_clEvEUlfE_j15function_traitsIS7_EEENT1_11result_typeERKT_PrKPcPKT0_PKN3c1010ScalarTypeEi.num_named_barrier, 0
	.set .L_ZN2at6native6invokeIZZZNS0_12_GLOBAL__N_121bessel_y0_kernel_cudaERNS_18TensorIteratorBaseEENKUlvE_clEvENKUlvE0_clEvEUlfE_j15function_traitsIS7_EEENT1_11result_typeERKT_PrKPcPKT0_PKN3c1010ScalarTypeEi.private_seg_size, 0
	.set .L_ZN2at6native6invokeIZZZNS0_12_GLOBAL__N_121bessel_y0_kernel_cudaERNS_18TensorIteratorBaseEENKUlvE_clEvENKUlvE0_clEvEUlfE_j15function_traitsIS7_EEENT1_11result_typeERKT_PrKPcPKT0_PKN3c1010ScalarTypeEi.uses_vcc, 1
	.set .L_ZN2at6native6invokeIZZZNS0_12_GLOBAL__N_121bessel_y0_kernel_cudaERNS_18TensorIteratorBaseEENKUlvE_clEvENKUlvE0_clEvEUlfE_j15function_traitsIS7_EEENT1_11result_typeERKT_PrKPcPKT0_PKN3c1010ScalarTypeEi.uses_flat_scratch, 0
	.set .L_ZN2at6native6invokeIZZZNS0_12_GLOBAL__N_121bessel_y0_kernel_cudaERNS_18TensorIteratorBaseEENKUlvE_clEvENKUlvE0_clEvEUlfE_j15function_traitsIS7_EEENT1_11result_typeERKT_PrKPcPKT0_PKN3c1010ScalarTypeEi.has_dyn_sized_stack, 0
	.set .L_ZN2at6native6invokeIZZZNS0_12_GLOBAL__N_121bessel_y0_kernel_cudaERNS_18TensorIteratorBaseEENKUlvE_clEvENKUlvE0_clEvEUlfE_j15function_traitsIS7_EEENT1_11result_typeERKT_PrKPcPKT0_PKN3c1010ScalarTypeEi.has_recursion, 0
	.set .L_ZN2at6native6invokeIZZZNS0_12_GLOBAL__N_121bessel_y0_kernel_cudaERNS_18TensorIteratorBaseEENKUlvE_clEvENKUlvE0_clEvEUlfE_j15function_traitsIS7_EEENT1_11result_typeERKT_PrKPcPKT0_PKN3c1010ScalarTypeEi.has_indirect_call, 0
	.section	.AMDGPU.csdata,"",@progbits
; Function info:
; codeLenInByte = 5684
; TotalNumSgprs: 36
; NumVgprs: 20
; ScratchSize: 0
; MemoryBound: 1
	.section	.text._ZN2at6native32elementwise_kernel_manual_unrollILi128ELi4EZNS0_15gpu_kernel_implIZZZNS0_12_GLOBAL__N_121bessel_y0_kernel_cudaERNS_18TensorIteratorBaseEENKUlvE_clEvENKUlvE0_clEvEUlfE_EEvS5_RKT_EUlibE0_EEviT1_,"axG",@progbits,_ZN2at6native32elementwise_kernel_manual_unrollILi128ELi4EZNS0_15gpu_kernel_implIZZZNS0_12_GLOBAL__N_121bessel_y0_kernel_cudaERNS_18TensorIteratorBaseEENKUlvE_clEvENKUlvE0_clEvEUlfE_EEvS5_RKT_EUlibE0_EEviT1_,comdat
	.globl	_ZN2at6native32elementwise_kernel_manual_unrollILi128ELi4EZNS0_15gpu_kernel_implIZZZNS0_12_GLOBAL__N_121bessel_y0_kernel_cudaERNS_18TensorIteratorBaseEENKUlvE_clEvENKUlvE0_clEvEUlfE_EEvS5_RKT_EUlibE0_EEviT1_ ; -- Begin function _ZN2at6native32elementwise_kernel_manual_unrollILi128ELi4EZNS0_15gpu_kernel_implIZZZNS0_12_GLOBAL__N_121bessel_y0_kernel_cudaERNS_18TensorIteratorBaseEENKUlvE_clEvENKUlvE0_clEvEUlfE_EEvS5_RKT_EUlibE0_EEviT1_
	.p2align	8
	.type	_ZN2at6native32elementwise_kernel_manual_unrollILi128ELi4EZNS0_15gpu_kernel_implIZZZNS0_12_GLOBAL__N_121bessel_y0_kernel_cudaERNS_18TensorIteratorBaseEENKUlvE_clEvENKUlvE0_clEvEUlfE_EEvS5_RKT_EUlibE0_EEviT1_,@function
_ZN2at6native32elementwise_kernel_manual_unrollILi128ELi4EZNS0_15gpu_kernel_implIZZZNS0_12_GLOBAL__N_121bessel_y0_kernel_cudaERNS_18TensorIteratorBaseEENKUlvE_clEvENKUlvE0_clEvEUlfE_EEvS5_RKT_EUlibE0_EEviT1_: ; @_ZN2at6native32elementwise_kernel_manual_unrollILi128ELi4EZNS0_15gpu_kernel_implIZZZNS0_12_GLOBAL__N_121bessel_y0_kernel_cudaERNS_18TensorIteratorBaseEENKUlvE_clEvENKUlvE0_clEvEUlfE_EEvS5_RKT_EUlibE0_EEviT1_
; %bb.0:
	s_load_dword s74, s[4:5], 0x0
	s_load_dword s33, s[4:5], 0x8
	s_add_u32 s0, s0, s7
	s_addc_u32 s1, s1, 0
	s_mov_b64 s[28:29], s[4:5]
	s_add_u32 s34, s28, 8
	s_addc_u32 s35, s29, 0
	v_lshl_or_b32 v23, s6, 9, v0
	s_waitcnt lgkmcnt(0)
	s_add_i32 s76, s33, -1
	v_or_b32_e32 v1, 0x180, v23
	s_cmp_gt_u32 s76, 1
	v_cmp_le_i32_e32 vcc, s74, v1
	s_cselect_b64 s[50:51], -1, 0
	s_mov_b64 s[48:49], 0
	s_mov_b64 s[40:41], 0
	s_mov_b32 s32, 0
	s_and_saveexec_b64 s[4:5], vcc
	s_xor_b64 s[52:53], exec, s[4:5]
	s_cbranch_execz .LBB23_566
; %bb.1:
	v_mov_b32_e32 v0, 0
	global_load_ushort v0, v0, s[34:35] offset:345
	s_load_dwordx4 s[44:47], s[34:35], 0x4
	s_load_dwordx2 s[54:55], s[34:35], 0x14
	s_load_dwordx4 s[40:43], s[34:35], 0xc4
	s_load_dwordx4 s[36:39], s[34:35], 0x148
	s_cmp_lg_u32 s33, 0
	s_cselect_b64 s[60:61], -1, 0
	s_add_u32 s58, s34, 0xc4
	s_addc_u32 s59, s35, 0
	s_min_u32 s78, s76, 15
	v_mov_b32_e32 v1, 8
	s_cmp_gt_u32 s33, 1
	v_cmp_gt_i32_e32 vcc, s74, v23
	s_mov_b64 s[4:5], -1
	s_mov_b64 s[68:69], 0
	s_cselect_b64 s[56:57], -1, 0
	s_mov_b64 s[62:63], 0
	s_waitcnt vmcnt(0)
	v_readfirstlane_b32 s77, v0
	v_lshrrev_b32_sdwa v20, v1, v0 dst_sel:DWORD dst_unused:UNUSED_PAD src0_sel:DWORD src1_sel:WORD_0
	s_and_saveexec_b64 s[64:65], vcc
	s_cbranch_execz .LBB23_138
; %bb.2:
	s_andn2_b64 vcc, exec, s[50:51]
	s_cbranch_vccnz .LBB23_7
; %bb.3:
	s_andn2_b64 vcc, exec, s[60:61]
	s_cbranch_vccnz .LBB23_8
; %bb.4:
	s_add_i32 s31, s78, 1
	s_cmp_eq_u32 s76, 2
	s_cbranch_scc1 .LBB23_9
; %bb.5:
	s_and_b32 s30, s31, 28
	v_mov_b32_e32 v2, 0
	s_mov_b32 s62, 0
	s_mov_b64 s[24:25], s[34:35]
	s_mov_b64 s[26:27], s[58:59]
	v_mov_b32_e32 v21, 0
	v_mov_b32_e32 v0, v23
.LBB23_6:                               ; =>This Inner Loop Header: Depth=1
	s_load_dwordx8 s[12:19], s[24:25], 0x4
	s_load_dwordx4 s[20:23], s[24:25], 0x24
	s_load_dwordx8 s[4:11], s[26:27], 0x0
	s_add_u32 s24, s24, 48
	s_addc_u32 s25, s25, 0
	s_waitcnt lgkmcnt(0)
	v_mul_hi_u32 v1, s13, v0
	s_add_i32 s62, s62, 4
	s_add_u32 s26, s26, 32
	s_addc_u32 s27, s27, 0
	v_add_u32_e32 v1, v0, v1
	v_lshrrev_b32_e32 v1, s14, v1
	v_mul_lo_u32 v3, v1, s12
	v_mul_hi_u32 v4, s16, v1
	s_cmp_lg_u32 s30, s62
	v_sub_u32_e32 v0, v0, v3
	v_add_u32_e32 v3, v1, v4
	v_mul_lo_u32 v4, v0, s4
	v_mul_lo_u32 v5, v0, s5
	v_lshrrev_b32_e32 v0, s17, v3
	v_mul_lo_u32 v3, v0, s15
	v_mul_hi_u32 v6, s19, v0
	v_sub_u32_e32 v1, v1, v3
	v_add_u32_e32 v3, v0, v6
	v_lshrrev_b32_e32 v3, s20, v3
	v_mul_hi_u32 v7, s22, v3
	v_mul_lo_u32 v8, v3, s18
	v_mul_lo_u32 v6, v1, s6
	;; [unrolled: 1-line block ×3, first 2 shown]
	v_sub_u32_e32 v8, v0, v8
	v_add_u32_e32 v0, v3, v7
	v_lshrrev_b32_e32 v0, s23, v0
	v_mul_lo_u32 v7, v0, s21
	v_mul_lo_u32 v9, v8, s8
	;; [unrolled: 1-line block ×3, first 2 shown]
	v_add3_u32 v4, v4, v21, v6
	v_sub_u32_e32 v3, v3, v7
	v_mul_lo_u32 v7, v3, s10
	v_mul_lo_u32 v3, v3, s11
	v_add3_u32 v1, v5, v2, v1
	v_add3_u32 v21, v9, v4, v7
	;; [unrolled: 1-line block ×3, first 2 shown]
	s_cbranch_scc1 .LBB23_6
	s_branch .LBB23_10
.LBB23_7:
                                        ; implicit-def: $vgpr21
                                        ; implicit-def: $vgpr2
	s_andn2_b64 vcc, exec, s[4:5]
	s_cbranch_vccz .LBB23_14
	s_branch .LBB23_16
.LBB23_8:
	v_mov_b32_e32 v21, 0
	v_mov_b32_e32 v2, 0
	s_branch .LBB23_13
.LBB23_9:
	s_mov_b32 s30, 0
	v_mov_b32_e32 v21, 0
	v_mov_b32_e32 v2, 0
	;; [unrolled: 1-line block ×3, first 2 shown]
.LBB23_10:
	s_and_b32 s8, s31, 3
	s_cmp_eq_u32 s8, 0
	s_cbranch_scc1 .LBB23_13
; %bb.11:
	s_lshl_b32 s4, s30, 3
	s_add_u32 s4, s34, s4
	s_addc_u32 s5, s35, 0
	s_add_u32 s4, s4, 0xc4
	s_addc_u32 s5, s5, 0
	s_mul_i32 s6, s30, 12
	s_add_u32 s6, s34, s6
	s_addc_u32 s7, s35, 0
.LBB23_12:                              ; =>This Inner Loop Header: Depth=1
	s_load_dwordx2 s[10:11], s[6:7], 0x4
	s_load_dword s9, s[6:7], 0xc
	s_load_dwordx2 s[12:13], s[4:5], 0x0
	s_add_u32 s6, s6, 12
	s_addc_u32 s7, s7, 0
	s_waitcnt lgkmcnt(0)
	v_mul_hi_u32 v1, s11, v0
	s_add_u32 s4, s4, 8
	s_addc_u32 s5, s5, 0
	s_add_i32 s8, s8, -1
	v_add_u32_e32 v1, v0, v1
	v_lshrrev_b32_e32 v1, s9, v1
	v_mul_lo_u32 v3, v1, s10
	s_cmp_lg_u32 s8, 0
	v_sub_u32_e32 v0, v0, v3
	v_mad_u64_u32 v[21:22], s[10:11], v0, s12, v[21:22]
	v_mad_u64_u32 v[2:3], s[10:11], v0, s13, v[2:3]
	v_mov_b32_e32 v0, v1
	s_cbranch_scc1 .LBB23_12
.LBB23_13:
	s_cbranch_execnz .LBB23_16
.LBB23_14:
	s_waitcnt lgkmcnt(0)
	v_mul_hi_u32 v0, s45, v23
	s_andn2_b64 vcc, exec, s[56:57]
	v_add_u32_e32 v0, v23, v0
	v_lshrrev_b32_e32 v0, s46, v0
	v_mul_lo_u32 v1, v0, s44
	v_sub_u32_e32 v1, v23, v1
	v_mul_lo_u32 v21, v1, s40
	v_mul_lo_u32 v2, v1, s41
	s_cbranch_vccnz .LBB23_16
; %bb.15:
	v_mul_hi_u32 v1, s54, v0
	v_add_u32_e32 v1, v0, v1
	v_lshrrev_b32_e32 v1, s55, v1
	v_mul_lo_u32 v1, v1, s47
	v_sub_u32_e32 v0, v0, v1
	v_mad_u64_u32 v[21:22], s[4:5], v0, s42, v[21:22]
	v_mad_u64_u32 v[2:3], s[4:5], v0, s43, v[2:3]
.LBB23_16:
	s_getpc_b64 s[4:5]
	s_add_u32 s4, s4, _ZN2at6native6invokeIZZZNS0_12_GLOBAL__N_121bessel_y0_kernel_cudaERNS_18TensorIteratorBaseEENKUlvE_clEvENKUlvE0_clEvEUlfE_j15function_traitsIS7_EEENT1_11result_typeERKT_PrKPcPKT0_PKN3c1010ScalarTypeEi@rel32@lo+4
	s_addc_u32 s5, s5, _ZN2at6native6invokeIZZZNS0_12_GLOBAL__N_121bessel_y0_kernel_cudaERNS_18TensorIteratorBaseEENKUlvE_clEvENKUlvE0_clEvEUlfE_j15function_traitsIS7_EEENT1_11result_typeERKT_PrKPcPKT0_PKN3c1010ScalarTypeEi@rel32@hi+12
	s_waitcnt lgkmcnt(0)
	v_mov_b32_e32 v0, s38
	v_mov_b32_e32 v1, s39
	;; [unrolled: 1-line block ×3, first 2 shown]
	s_swappc_b64 s[30:31], s[4:5]
	v_mov_b32_e32 v1, s37
	s_and_b32 s12, s77, 0xff
	v_add_co_u32_e32 v2, vcc, s36, v21
	s_cmp_lt_i32 s12, 11
	v_addc_co_u32_e32 v3, vcc, 0, v1, vcc
	s_cbranch_scc1 .LBB23_23
; %bb.17:
	s_and_b32 s13, 0xffff, s12
	s_cmp_gt_i32 s13, 25
	s_cbranch_scc0 .LBB23_26
; %bb.18:
	s_cmp_gt_i32 s13, 28
	s_cbranch_scc0 .LBB23_27
; %bb.19:
	;; [unrolled: 3-line block ×4, first 2 shown]
	s_mov_b64 s[8:9], 0
	s_mov_b64 s[4:5], -1
	s_cmp_eq_u32 s13, 46
	s_mov_b64 s[6:7], 0
	s_cbranch_scc0 .LBB23_30
; %bb.22:
	v_bfe_u32 v1, v0, 16, 1
	s_movk_i32 s4, 0x7fff
	v_add3_u32 v1, v0, v1, s4
	v_cmp_o_f32_e32 vcc, v0, v0
	v_mov_b32_e32 v4, 0x7fc0
	v_cndmask_b32_sdwa v1, v4, v1, vcc dst_sel:DWORD dst_unused:UNUSED_PAD src0_sel:DWORD src1_sel:WORD_1
	global_store_dword v[2:3], v1, off
	s_mov_b64 s[6:7], -1
	s_mov_b64 s[4:5], 0
	s_branch .LBB23_30
.LBB23_23:
	s_mov_b64 s[4:5], 0
	s_mov_b64 s[6:7], 0
	s_cbranch_execnz .LBB23_98
.LBB23_24:
	s_andn2_b64 vcc, exec, s[6:7]
	s_cbranch_vccnz .LBB23_136
.LBB23_25:
	v_add_u32_e32 v23, 0x80, v23
	s_mov_b64 s[6:7], -1
	s_branch .LBB23_137
.LBB23_26:
	s_mov_b64 s[4:5], 0
	s_mov_b64 s[6:7], 0
	s_cbranch_execnz .LBB23_57
	s_branch .LBB23_97
.LBB23_27:
	s_mov_b64 s[8:9], -1
	s_mov_b64 s[4:5], 0
	s_mov_b64 s[6:7], 0
	s_branch .LBB23_40
.LBB23_28:
	s_mov_b64 s[8:9], -1
	s_mov_b64 s[4:5], 0
	s_mov_b64 s[6:7], 0
	s_branch .LBB23_36
.LBB23_29:
	s_mov_b64 s[8:9], -1
	s_mov_b64 s[4:5], 0
	s_mov_b64 s[6:7], 0
.LBB23_30:
	s_and_b64 vcc, exec, s[8:9]
	s_cbranch_vccz .LBB23_35
; %bb.31:
	s_cmp_eq_u32 s13, 44
	s_mov_b64 s[4:5], -1
	s_cbranch_scc0 .LBB23_35
; %bb.32:
	v_bfe_u32 v1, v0, 23, 8
	s_movk_i32 s4, 0xff
	v_cmp_ne_u32_e32 vcc, s4, v1
	v_mov_b32_e32 v4, 0xff
	s_and_saveexec_b64 s[6:7], vcc
; %bb.33:
	s_mov_b32 s4, 0x3fffff
	v_and_b32_e32 v5, 0x400000, v0
	v_and_or_b32 v1, v0, s4, v1
	v_cmp_ne_u32_e32 vcc, 0, v5
	v_cmp_ne_u32_e64 s[4:5], 0, v1
	s_and_b64 s[4:5], vcc, s[4:5]
	v_lshrrev_b32_e32 v4, 23, v0
	v_cndmask_b32_e64 v1, 0, 1, s[4:5]
	v_add_u32_e32 v4, v4, v1
; %bb.34:
	s_or_b64 exec, exec, s[6:7]
	s_mov_b64 s[6:7], -1
	s_mov_b64 s[4:5], 0
	global_store_byte v[2:3], v4, off
.LBB23_35:
	s_mov_b64 s[8:9], 0
.LBB23_36:
	s_and_b64 vcc, exec, s[8:9]
	s_cbranch_vccz .LBB23_39
; %bb.37:
	s_cmp_eq_u32 s13, 29
	s_mov_b64 s[4:5], -1
	s_cbranch_scc0 .LBB23_39
; %bb.38:
	v_trunc_f32_e32 v1, v0
	v_mul_f32_e32 v4, 0x2f800000, v1
	v_floor_f32_e32 v4, v4
	v_fmac_f32_e32 v1, 0xcf800000, v4
	v_cvt_u32_f32_e32 v5, v4
	v_cvt_u32_f32_e32 v4, v1
	s_mov_b64 s[6:7], -1
	s_mov_b64 s[4:5], 0
	s_mov_b64 s[8:9], 0
	global_store_dwordx2 v[2:3], v[4:5], off
	s_branch .LBB23_40
.LBB23_39:
	s_mov_b64 s[8:9], 0
.LBB23_40:
	s_and_b64 vcc, exec, s[8:9]
	s_cbranch_vccz .LBB23_56
; %bb.41:
	s_cmp_lt_i32 s13, 27
	s_mov_b64 s[6:7], -1
	s_cbranch_scc1 .LBB23_47
; %bb.42:
	s_cmp_gt_i32 s13, 27
	s_cbranch_scc0 .LBB23_44
; %bb.43:
	v_cvt_u32_f32_e32 v1, v0
	s_mov_b64 s[6:7], 0
	global_store_dword v[2:3], v1, off
.LBB23_44:
	s_andn2_b64 vcc, exec, s[6:7]
	s_cbranch_vccnz .LBB23_46
; %bb.45:
	v_cvt_u32_f32_e32 v1, v0
	global_store_short v[2:3], v1, off
.LBB23_46:
	s_mov_b64 s[6:7], 0
.LBB23_47:
	s_andn2_b64 vcc, exec, s[6:7]
	s_cbranch_vccnz .LBB23_55
; %bb.48:
	v_and_b32_e32 v1, 0x7fffffff, v0
	s_mov_b32 s6, 0x43800000
	v_cmp_gt_u32_e32 vcc, s6, v1
	v_mov_b32_e32 v4, 0x80
	s_and_saveexec_b64 s[6:7], vcc
	s_cbranch_execz .LBB23_54
; %bb.49:
	s_mov_b32 s8, 0x3bffffff
	v_cmp_lt_u32_e32 vcc, s8, v1
	s_mov_b64 s[8:9], 0
                                        ; implicit-def: $vgpr1
	s_and_saveexec_b64 s[10:11], vcc
	s_xor_b64 s[10:11], exec, s[10:11]
	s_cbranch_execz .LBB23_169
; %bb.50:
	v_bfe_u32 v1, v0, 20, 1
	s_mov_b32 s14, 0x487ffff
	v_add3_u32 v1, v0, v1, s14
	s_mov_b64 s[8:9], exec
	v_lshrrev_b32_e32 v1, 20, v1
	s_andn2_saveexec_b64 s[10:11], s[10:11]
	s_cbranch_execnz .LBB23_170
.LBB23_51:
	s_or_b64 exec, exec, s[10:11]
	v_mov_b32_e32 v4, 0
	s_and_saveexec_b64 s[10:11], s[8:9]
.LBB23_52:
	v_lshrrev_b32_e32 v4, 24, v0
	s_movk_i32 s8, 0x80
	v_and_or_b32 v4, v4, s8, v1
.LBB23_53:
	s_or_b64 exec, exec, s[10:11]
.LBB23_54:
	s_or_b64 exec, exec, s[6:7]
	global_store_byte v[2:3], v4, off
.LBB23_55:
	s_mov_b64 s[6:7], -1
.LBB23_56:
	s_branch .LBB23_97
.LBB23_57:
	s_cmp_gt_i32 s13, 22
	s_mov_b64 s[8:9], -1
	s_cbranch_scc0 .LBB23_89
; %bb.58:
	s_cmp_lt_i32 s13, 24
	s_mov_b64 s[6:7], -1
	s_cbranch_scc1 .LBB23_78
; %bb.59:
	s_cmp_gt_i32 s13, 24
	s_cbranch_scc0 .LBB23_67
; %bb.60:
	v_and_b32_e32 v1, 0x7fffffff, v0
	s_mov_b32 s6, 0x47800000
	v_cmp_gt_u32_e32 vcc, s6, v1
	v_mov_b32_e32 v4, 0x80
	s_and_saveexec_b64 s[6:7], vcc
	s_cbranch_execz .LBB23_66
; %bb.61:
	s_mov_b32 s8, 0x37ffffff
	v_cmp_lt_u32_e32 vcc, s8, v1
	s_mov_b64 s[8:9], 0
                                        ; implicit-def: $vgpr1
	s_and_saveexec_b64 s[10:11], vcc
	s_xor_b64 s[10:11], exec, s[10:11]
	s_cbranch_execz .LBB23_172
; %bb.62:
	v_bfe_u32 v1, v0, 21, 1
	s_mov_b32 s14, 0x88fffff
	v_add3_u32 v1, v0, v1, s14
	s_mov_b64 s[8:9], exec
	v_lshrrev_b32_e32 v1, 21, v1
	s_andn2_saveexec_b64 s[10:11], s[10:11]
	s_cbranch_execnz .LBB23_173
.LBB23_63:
	s_or_b64 exec, exec, s[10:11]
	v_mov_b32_e32 v4, 0
	s_and_saveexec_b64 s[10:11], s[8:9]
.LBB23_64:
	v_lshrrev_b32_e32 v4, 24, v0
	s_movk_i32 s8, 0x80
	v_and_or_b32 v4, v4, s8, v1
.LBB23_65:
	s_or_b64 exec, exec, s[10:11]
.LBB23_66:
	s_or_b64 exec, exec, s[6:7]
	s_mov_b64 s[6:7], 0
	global_store_byte v[2:3], v4, off
.LBB23_67:
	s_and_b64 vcc, exec, s[6:7]
	s_cbranch_vccz .LBB23_77
; %bb.68:
	v_and_b32_e32 v4, 0x7fffffff, v0
	s_mov_b32 s6, 0x43f00000
	v_cmp_gt_u32_e32 vcc, s6, v4
                                        ; implicit-def: $vgpr1
	s_and_saveexec_b64 s[6:7], vcc
	s_xor_b64 s[6:7], exec, s[6:7]
	s_cbranch_execz .LBB23_74
; %bb.69:
	s_mov_b32 s8, 0x3c7fffff
	v_cmp_lt_u32_e32 vcc, s8, v4
                                        ; implicit-def: $vgpr1
	s_and_saveexec_b64 s[8:9], vcc
	s_xor_b64 s[8:9], exec, s[8:9]
; %bb.70:
	v_bfe_u32 v1, v0, 20, 1
	s_mov_b32 s10, 0x407ffff
	v_add3_u32 v1, v0, v1, s10
	v_lshrrev_b32_e32 v4, 20, v1
	v_and_b32_e32 v1, 0xff00000, v1
	s_mov_b32 s10, 0x7f00000
	v_mov_b32_e32 v5, 0x7e
	v_cmp_ne_u32_e32 vcc, s10, v1
	v_cndmask_b32_e32 v1, v5, v4, vcc
; %bb.71:
	s_andn2_saveexec_b64 s[8:9], s[8:9]
; %bb.72:
	s_mov_b32 s10, 0x46800000
	v_add_f32_e64 v1, |v0|, s10
; %bb.73:
	s_or_b64 exec, exec, s[8:9]
                                        ; implicit-def: $vgpr4
.LBB23_74:
	s_andn2_saveexec_b64 s[6:7], s[6:7]
; %bb.75:
	s_mov_b32 s8, 0x7f800000
	v_mov_b32_e32 v1, 0x7e
	v_mov_b32_e32 v5, 0x7f
	v_cmp_lt_u32_e32 vcc, s8, v4
	v_cndmask_b32_e32 v1, v1, v5, vcc
; %bb.76:
	s_or_b64 exec, exec, s[6:7]
	v_lshrrev_b32_e32 v4, 24, v0
	s_movk_i32 s6, 0x80
	v_and_or_b32 v1, v4, s6, v1
	global_store_byte v[2:3], v1, off
.LBB23_77:
	s_mov_b64 s[6:7], 0
.LBB23_78:
	s_andn2_b64 vcc, exec, s[6:7]
	s_cbranch_vccnz .LBB23_88
; %bb.79:
	v_and_b32_e32 v4, 0x7fffffff, v0
	s_mov_b32 s6, 0x47800000
	v_cmp_gt_u32_e32 vcc, s6, v4
                                        ; implicit-def: $vgpr1
	s_and_saveexec_b64 s[6:7], vcc
	s_xor_b64 s[6:7], exec, s[6:7]
	s_cbranch_execz .LBB23_85
; %bb.80:
	s_mov_b32 s8, 0x387fffff
	v_cmp_lt_u32_e32 vcc, s8, v4
                                        ; implicit-def: $vgpr1
	s_and_saveexec_b64 s[8:9], vcc
	s_xor_b64 s[8:9], exec, s[8:9]
; %bb.81:
	v_bfe_u32 v1, v0, 21, 1
	s_mov_b32 s10, 0x80fffff
	v_add3_u32 v1, v0, v1, s10
	v_lshrrev_b32_e32 v1, 21, v1
; %bb.82:
	s_andn2_saveexec_b64 s[8:9], s[8:9]
; %bb.83:
	s_mov_b32 s10, 0x43000000
	v_add_f32_e64 v1, |v0|, s10
; %bb.84:
	s_or_b64 exec, exec, s[8:9]
                                        ; implicit-def: $vgpr4
.LBB23_85:
	s_andn2_saveexec_b64 s[6:7], s[6:7]
; %bb.86:
	s_mov_b32 s8, 0x7f800000
	v_mov_b32_e32 v1, 0x7c
	v_mov_b32_e32 v5, 0x7f
	v_cmp_lt_u32_e32 vcc, s8, v4
	v_cndmask_b32_e32 v1, v1, v5, vcc
; %bb.87:
	s_or_b64 exec, exec, s[6:7]
	v_lshrrev_b32_e32 v4, 24, v0
	s_movk_i32 s6, 0x80
	v_and_or_b32 v1, v4, s6, v1
	global_store_byte v[2:3], v1, off
.LBB23_88:
	s_mov_b64 s[8:9], 0
	s_mov_b64 s[6:7], -1
.LBB23_89:
	s_andn2_b64 vcc, exec, s[8:9]
	s_cbranch_vccnz .LBB23_97
; %bb.90:
	s_cmp_gt_i32 s13, 14
	s_mov_b64 s[8:9], -1
	s_cbranch_scc0 .LBB23_94
; %bb.91:
	s_cmp_eq_u32 s13, 15
	s_mov_b64 s[4:5], -1
	s_cbranch_scc0 .LBB23_93
; %bb.92:
	v_bfe_u32 v1, v0, 16, 1
	s_movk_i32 s4, 0x7fff
	v_add3_u32 v1, v0, v1, s4
	v_cmp_o_f32_e32 vcc, v0, v0
	v_mov_b32_e32 v4, 0x7fc0
	v_cndmask_b32_sdwa v1, v4, v1, vcc dst_sel:DWORD dst_unused:UNUSED_PAD src0_sel:DWORD src1_sel:WORD_1
	global_store_short v[2:3], v1, off
	s_mov_b64 s[6:7], -1
	s_mov_b64 s[4:5], 0
.LBB23_93:
	s_mov_b64 s[8:9], 0
.LBB23_94:
	s_and_b64 vcc, exec, s[8:9]
	s_cbranch_vccz .LBB23_97
; %bb.95:
	s_cmp_eq_u32 s13, 11
	s_mov_b64 s[4:5], -1
	s_cbranch_scc0 .LBB23_97
; %bb.96:
	v_cmp_neq_f32_e32 vcc, 0, v0
	v_cndmask_b32_e64 v1, 0, 1, vcc
	s_mov_b64 s[6:7], -1
	s_mov_b64 s[4:5], 0
	global_store_byte v[2:3], v1, off
.LBB23_97:
	s_branch .LBB23_24
.LBB23_98:
	s_and_b32 s8, 0xffff, s12
	s_cmp_lt_i32 s8, 5
	s_mov_b64 s[6:7], -1
	s_cbranch_scc1 .LBB23_119
; %bb.99:
	s_cmp_lt_i32 s8, 8
	s_cbranch_scc1 .LBB23_109
; %bb.100:
	s_cmp_lt_i32 s8, 9
	s_cbranch_scc1 .LBB23_106
; %bb.101:
	s_cmp_gt_i32 s8, 9
	s_cbranch_scc0 .LBB23_103
; %bb.102:
	v_cvt_f64_f32_e32 v[4:5], v0
	v_mov_b32_e32 v6, 0
	v_mov_b32_e32 v7, v6
	s_mov_b64 s[6:7], 0
	global_store_dwordx4 v[2:3], v[4:7], off
.LBB23_103:
	s_andn2_b64 vcc, exec, s[6:7]
	s_cbranch_vccnz .LBB23_105
; %bb.104:
	v_mov_b32_e32 v1, 0
	global_store_dwordx2 v[2:3], v[0:1], off
.LBB23_105:
	s_mov_b64 s[6:7], 0
.LBB23_106:
	s_andn2_b64 vcc, exec, s[6:7]
	s_cbranch_vccnz .LBB23_108
; %bb.107:
	v_cvt_f16_f32_e32 v1, v0
	global_store_dword v[2:3], v1, off
.LBB23_108:
	s_mov_b64 s[6:7], 0
.LBB23_109:
	s_andn2_b64 vcc, exec, s[6:7]
	s_cbranch_vccnz .LBB23_118
; %bb.110:
	s_cmp_lt_i32 s8, 6
	s_mov_b64 s[6:7], -1
	s_cbranch_scc1 .LBB23_116
; %bb.111:
	s_cmp_gt_i32 s8, 6
	s_cbranch_scc0 .LBB23_113
; %bb.112:
	v_cvt_f64_f32_e32 v[4:5], v0
	s_mov_b64 s[6:7], 0
	global_store_dwordx2 v[2:3], v[4:5], off
.LBB23_113:
	s_andn2_b64 vcc, exec, s[6:7]
	s_cbranch_vccnz .LBB23_115
; %bb.114:
	global_store_dword v[2:3], v0, off
.LBB23_115:
	s_mov_b64 s[6:7], 0
.LBB23_116:
	s_andn2_b64 vcc, exec, s[6:7]
	s_cbranch_vccnz .LBB23_118
; %bb.117:
	v_cvt_f16_f32_e32 v1, v0
	global_store_short v[2:3], v1, off
.LBB23_118:
	s_mov_b64 s[6:7], 0
.LBB23_119:
	s_andn2_b64 vcc, exec, s[6:7]
	s_cbranch_vccnz .LBB23_135
; %bb.120:
	s_cmp_lt_i32 s8, 2
	s_mov_b64 s[6:7], -1
	s_cbranch_scc1 .LBB23_130
; %bb.121:
	s_cmp_lt_i32 s8, 3
	s_cbranch_scc1 .LBB23_127
; %bb.122:
	s_cmp_gt_i32 s8, 3
	s_cbranch_scc0 .LBB23_124
; %bb.123:
	v_trunc_f32_e32 v1, v0
	s_mov_b32 s6, 0x2f800000
	v_mul_f32_e64 v4, |v1|, s6
	v_floor_f32_e32 v4, v4
	s_mov_b32 s6, 0xcf800000
	v_cvt_u32_f32_e32 v5, v4
	v_fma_f32 v4, v4, s6, |v1|
	v_cvt_u32_f32_e32 v4, v4
	v_ashrrev_i32_e32 v1, 31, v1
	v_xor_b32_e32 v5, v5, v1
	s_mov_b64 s[6:7], 0
	v_xor_b32_e32 v4, v4, v1
	v_sub_co_u32_e32 v4, vcc, v4, v1
	v_subb_co_u32_e32 v5, vcc, v5, v1, vcc
	global_store_dwordx2 v[2:3], v[4:5], off
.LBB23_124:
	s_andn2_b64 vcc, exec, s[6:7]
	s_cbranch_vccnz .LBB23_126
; %bb.125:
	v_cvt_i32_f32_e32 v1, v0
	global_store_dword v[2:3], v1, off
.LBB23_126:
	s_mov_b64 s[6:7], 0
.LBB23_127:
	s_andn2_b64 vcc, exec, s[6:7]
	s_cbranch_vccnz .LBB23_129
; %bb.128:
	v_cvt_i32_f32_e32 v1, v0
	global_store_short v[2:3], v1, off
.LBB23_129:
	s_mov_b64 s[6:7], 0
.LBB23_130:
	s_andn2_b64 vcc, exec, s[6:7]
	s_cbranch_vccnz .LBB23_135
; %bb.131:
	s_cmp_gt_i32 s8, 0
	s_mov_b64 s[6:7], -1
	s_cbranch_scc0 .LBB23_133
; %bb.132:
	v_cvt_i32_f32_e32 v1, v0
	s_mov_b64 s[6:7], 0
	global_store_byte v[2:3], v1, off
.LBB23_133:
	s_andn2_b64 vcc, exec, s[6:7]
	s_cbranch_vccnz .LBB23_135
; %bb.134:
	v_trunc_f32_e32 v0, v0
	s_mov_b32 s6, 0x2f800000
	v_mul_f32_e64 v1, |v0|, s6
	v_floor_f32_e32 v1, v1
	s_mov_b32 s6, 0xcf800000
	v_fma_f32 v1, v1, s6, |v0|
	v_cvt_u32_f32_e32 v1, v1
	v_ashrrev_i32_e32 v0, 31, v0
	v_xor_b32_e32 v1, v1, v0
	v_sub_u32_e32 v0, v1, v0
	global_store_byte v[2:3], v0, off
.LBB23_135:
	s_branch .LBB23_25
.LBB23_136:
	s_mov_b64 s[6:7], 0
                                        ; implicit-def: $vgpr23
.LBB23_137:
	s_and_b64 s[62:63], s[4:5], exec
	s_orn2_b64 s[4:5], s[6:7], exec
.LBB23_138:
	s_or_b64 exec, exec, s[64:65]
	s_mov_b64 s[6:7], 0
                                        ; implicit-def: $sgpr14
                                        ; implicit-def: $vgpr2_vgpr3
                                        ; implicit-def: $vgpr0
	s_and_saveexec_b64 s[64:65], s[4:5]
	s_cbranch_execz .LBB23_145
; %bb.139:
	v_cmp_gt_i32_e32 vcc, s74, v23
	s_mov_b64 s[8:9], -1
	s_mov_b64 s[66:67], s[62:63]
	s_and_saveexec_b64 s[68:69], vcc
	s_cbranch_execz .LBB23_284
; %bb.140:
	s_andn2_b64 vcc, exec, s[50:51]
	s_cbranch_vccnz .LBB23_148
; %bb.141:
	s_andn2_b64 vcc, exec, s[60:61]
	s_cbranch_vccnz .LBB23_149
; %bb.142:
	s_add_i32 s31, s78, 1
	s_cmp_eq_u32 s76, 2
	s_cbranch_scc1 .LBB23_150
; %bb.143:
	s_and_b32 s30, s31, 28
	v_mov_b32_e32 v2, 0
	s_mov_b32 s66, 0
	s_mov_b64 s[24:25], s[34:35]
	s_mov_b64 s[26:27], s[58:59]
	v_mov_b32_e32 v21, 0
	v_mov_b32_e32 v0, v23
.LBB23_144:                             ; =>This Inner Loop Header: Depth=1
	s_load_dwordx8 s[12:19], s[24:25], 0x4
	s_load_dwordx4 s[20:23], s[24:25], 0x24
	s_load_dwordx8 s[4:11], s[26:27], 0x0
	s_add_u32 s24, s24, 48
	s_addc_u32 s25, s25, 0
	s_waitcnt lgkmcnt(0)
	v_mul_hi_u32 v1, s13, v0
	s_add_i32 s66, s66, 4
	s_add_u32 s26, s26, 32
	s_addc_u32 s27, s27, 0
	v_add_u32_e32 v1, v0, v1
	v_lshrrev_b32_e32 v1, s14, v1
	v_mul_lo_u32 v3, v1, s12
	v_mul_hi_u32 v4, s16, v1
	s_cmp_eq_u32 s30, s66
	v_sub_u32_e32 v0, v0, v3
	v_add_u32_e32 v3, v1, v4
	v_mul_lo_u32 v4, v0, s4
	v_mul_lo_u32 v5, v0, s5
	v_lshrrev_b32_e32 v0, s17, v3
	v_mul_lo_u32 v3, v0, s15
	v_mul_hi_u32 v6, s19, v0
	v_sub_u32_e32 v1, v1, v3
	v_add_u32_e32 v3, v0, v6
	v_lshrrev_b32_e32 v3, s20, v3
	v_mul_hi_u32 v7, s22, v3
	v_mul_lo_u32 v8, v3, s18
	v_mul_lo_u32 v6, v1, s6
	;; [unrolled: 1-line block ×3, first 2 shown]
	v_sub_u32_e32 v8, v0, v8
	v_add_u32_e32 v0, v3, v7
	v_lshrrev_b32_e32 v0, s23, v0
	v_mul_lo_u32 v7, v0, s21
	v_mul_lo_u32 v9, v8, s8
	;; [unrolled: 1-line block ×3, first 2 shown]
	v_add3_u32 v4, v4, v21, v6
	v_sub_u32_e32 v3, v3, v7
	v_mul_lo_u32 v7, v3, s10
	v_mul_lo_u32 v3, v3, s11
	v_add3_u32 v1, v5, v2, v1
	v_add3_u32 v21, v9, v4, v7
	;; [unrolled: 1-line block ×3, first 2 shown]
	s_cbranch_scc0 .LBB23_144
	s_branch .LBB23_151
.LBB23_145:
	s_or_b64 exec, exec, s[64:65]
	s_mov_b64 s[4:5], 0
	s_and_saveexec_b64 s[8:9], s[62:63]
	s_cbranch_execnz .LBB23_526
.LBB23_146:
	s_or_b64 exec, exec, s[8:9]
	s_and_saveexec_b64 s[8:9], s[68:69]
	s_xor_b64 s[8:9], exec, s[8:9]
	s_cbranch_execz .LBB23_527
.LBB23_147:
	v_cmp_neq_f32_e32 vcc, 0, v0
	v_cndmask_b32_e64 v1, 0, 1, vcc
	global_store_byte v[2:3], v1, off
	s_or_b64 exec, exec, s[8:9]
	s_and_saveexec_b64 s[8:9], s[6:7]
	s_xor_b64 s[6:7], exec, s[8:9]
	s_cbranch_execz .LBB23_565
	s_branch .LBB23_528
.LBB23_148:
                                        ; implicit-def: $vgpr21
                                        ; implicit-def: $vgpr2
	s_branch .LBB23_155
.LBB23_149:
	v_mov_b32_e32 v21, 0
	v_mov_b32_e32 v2, 0
	s_branch .LBB23_154
.LBB23_150:
	s_mov_b32 s30, 0
	v_mov_b32_e32 v21, 0
	v_mov_b32_e32 v2, 0
	;; [unrolled: 1-line block ×3, first 2 shown]
.LBB23_151:
	s_and_b32 s8, s31, 3
	s_cmp_eq_u32 s8, 0
	s_cbranch_scc1 .LBB23_154
; %bb.152:
	s_lshl_b32 s4, s30, 3
	s_add_u32 s4, s34, s4
	s_addc_u32 s5, s35, 0
	s_add_u32 s4, s4, 0xc4
	s_addc_u32 s5, s5, 0
	s_mul_i32 s6, s30, 12
	s_add_u32 s6, s34, s6
	s_addc_u32 s7, s35, 0
.LBB23_153:                             ; =>This Inner Loop Header: Depth=1
	s_load_dwordx2 s[10:11], s[6:7], 0x4
	s_load_dword s9, s[6:7], 0xc
	s_load_dwordx2 s[12:13], s[4:5], 0x0
	s_add_u32 s6, s6, 12
	s_addc_u32 s7, s7, 0
	s_waitcnt lgkmcnt(0)
	v_mul_hi_u32 v1, s11, v0
	s_add_u32 s4, s4, 8
	s_addc_u32 s5, s5, 0
	s_add_i32 s8, s8, -1
	v_add_u32_e32 v1, v0, v1
	v_lshrrev_b32_e32 v1, s9, v1
	v_mul_lo_u32 v3, v1, s10
	s_cmp_lg_u32 s8, 0
	v_sub_u32_e32 v0, v0, v3
	v_mad_u64_u32 v[21:22], s[10:11], v0, s12, v[21:22]
	v_mad_u64_u32 v[2:3], s[10:11], v0, s13, v[2:3]
	v_mov_b32_e32 v0, v1
	s_cbranch_scc1 .LBB23_153
.LBB23_154:
	s_cbranch_execnz .LBB23_157
.LBB23_155:
	s_waitcnt lgkmcnt(0)
	v_mul_hi_u32 v0, s45, v23
	s_andn2_b64 vcc, exec, s[56:57]
	v_add_u32_e32 v0, v23, v0
	v_lshrrev_b32_e32 v0, s46, v0
	v_mul_lo_u32 v1, v0, s44
	v_sub_u32_e32 v1, v23, v1
	v_mul_lo_u32 v21, v1, s40
	v_mul_lo_u32 v2, v1, s41
	s_cbranch_vccnz .LBB23_157
; %bb.156:
	v_mul_hi_u32 v1, s54, v0
	v_add_u32_e32 v1, v0, v1
	v_lshrrev_b32_e32 v1, s55, v1
	v_mul_lo_u32 v1, v1, s47
	v_sub_u32_e32 v0, v0, v1
	v_mad_u64_u32 v[21:22], s[4:5], v0, s42, v[21:22]
	v_mad_u64_u32 v[2:3], s[4:5], v0, s43, v[2:3]
.LBB23_157:
	s_getpc_b64 s[4:5]
	s_add_u32 s4, s4, _ZN2at6native6invokeIZZZNS0_12_GLOBAL__N_121bessel_y0_kernel_cudaERNS_18TensorIteratorBaseEENKUlvE_clEvENKUlvE0_clEvEUlfE_j15function_traitsIS7_EEENT1_11result_typeERKT_PrKPcPKT0_PKN3c1010ScalarTypeEi@rel32@lo+4
	s_addc_u32 s5, s5, _ZN2at6native6invokeIZZZNS0_12_GLOBAL__N_121bessel_y0_kernel_cudaERNS_18TensorIteratorBaseEENKUlvE_clEvENKUlvE0_clEvEUlfE_j15function_traitsIS7_EEENT1_11result_typeERKT_PrKPcPKT0_PKN3c1010ScalarTypeEi@rel32@hi+12
	s_waitcnt lgkmcnt(0)
	v_mov_b32_e32 v0, s38
	v_mov_b32_e32 v1, s39
	;; [unrolled: 1-line block ×3, first 2 shown]
	s_swappc_b64 s[30:31], s[4:5]
	v_mov_b32_e32 v1, s37
	s_and_b32 s12, s77, 0xff
	v_add_co_u32_e32 v2, vcc, s36, v21
	s_cmp_lt_i32 s12, 11
	v_addc_co_u32_e32 v3, vcc, 0, v1, vcc
	s_cbranch_scc1 .LBB23_164
; %bb.158:
	s_and_b32 s13, 0xffff, s12
	s_cmp_gt_i32 s13, 25
	s_cbranch_scc0 .LBB23_167
; %bb.159:
	s_cmp_gt_i32 s13, 28
	s_cbranch_scc0 .LBB23_168
; %bb.160:
	;; [unrolled: 3-line block ×4, first 2 shown]
	s_mov_b64 s[8:9], 0
	s_mov_b64 s[4:5], -1
	s_cmp_eq_u32 s13, 46
	s_mov_b64 s[6:7], 0
	s_cbranch_scc0 .LBB23_175
; %bb.163:
	v_bfe_u32 v1, v0, 16, 1
	s_movk_i32 s4, 0x7fff
	v_add3_u32 v1, v0, v1, s4
	v_cmp_o_f32_e32 vcc, v0, v0
	v_mov_b32_e32 v4, 0x7fc0
	v_cndmask_b32_sdwa v1, v4, v1, vcc dst_sel:DWORD dst_unused:UNUSED_PAD src0_sel:DWORD src1_sel:WORD_1
	global_store_dword v[2:3], v1, off
	s_mov_b64 s[6:7], -1
	s_mov_b64 s[4:5], 0
	s_branch .LBB23_175
.LBB23_164:
	s_mov_b64 s[6:7], 0
	s_mov_b64 s[4:5], s[62:63]
	s_cbranch_execnz .LBB23_244
.LBB23_165:
	s_andn2_b64 vcc, exec, s[6:7]
	s_cbranch_vccnz .LBB23_282
.LBB23_166:
	v_add_u32_e32 v23, 0x80, v23
	s_mov_b64 s[6:7], -1
	s_branch .LBB23_283
.LBB23_167:
	s_mov_b64 s[8:9], -1
	s_mov_b64 s[6:7], 0
	s_mov_b64 s[4:5], s[62:63]
	s_branch .LBB23_202
.LBB23_168:
	s_mov_b64 s[8:9], -1
	s_mov_b64 s[6:7], 0
	s_mov_b64 s[4:5], s[62:63]
	s_branch .LBB23_185
.LBB23_169:
	s_andn2_saveexec_b64 s[10:11], s[10:11]
	s_cbranch_execz .LBB23_51
.LBB23_170:
	s_mov_b32 s14, 0x46000000
	v_add_f32_e64 v1, |v0|, s14
	v_and_b32_e32 v1, 0xff, v1
	v_cmp_ne_u32_e32 vcc, 0, v1
	s_andn2_b64 s[8:9], s[8:9], exec
	s_and_b64 s[14:15], vcc, exec
	s_or_b64 s[8:9], s[8:9], s[14:15]
	s_or_b64 exec, exec, s[10:11]
	v_mov_b32_e32 v4, 0
	s_and_saveexec_b64 s[10:11], s[8:9]
	s_cbranch_execnz .LBB23_52
	s_branch .LBB23_53
.LBB23_171:
	s_mov_b64 s[8:9], -1
	s_mov_b64 s[6:7], 0
	s_mov_b64 s[4:5], s[62:63]
	s_branch .LBB23_181
.LBB23_172:
	s_andn2_saveexec_b64 s[10:11], s[10:11]
	s_cbranch_execz .LBB23_63
.LBB23_173:
	s_mov_b32 s14, 0x42800000
	v_add_f32_e64 v1, |v0|, s14
	v_and_b32_e32 v1, 0xff, v1
	v_cmp_ne_u32_e32 vcc, 0, v1
	s_andn2_b64 s[8:9], s[8:9], exec
	s_and_b64 s[14:15], vcc, exec
	s_or_b64 s[8:9], s[8:9], s[14:15]
	s_or_b64 exec, exec, s[10:11]
	v_mov_b32_e32 v4, 0
	s_and_saveexec_b64 s[10:11], s[8:9]
	s_cbranch_execnz .LBB23_64
	s_branch .LBB23_65
.LBB23_174:
	s_mov_b64 s[8:9], -1
	s_mov_b64 s[6:7], 0
	s_mov_b64 s[4:5], s[62:63]
.LBB23_175:
	s_and_b64 vcc, exec, s[8:9]
	s_cbranch_vccz .LBB23_180
; %bb.176:
	s_cmp_eq_u32 s13, 44
	s_mov_b64 s[4:5], -1
	s_cbranch_scc0 .LBB23_180
; %bb.177:
	v_bfe_u32 v1, v0, 23, 8
	s_movk_i32 s4, 0xff
	v_cmp_ne_u32_e32 vcc, s4, v1
	v_mov_b32_e32 v4, 0xff
	s_and_saveexec_b64 s[6:7], vcc
; %bb.178:
	s_mov_b32 s4, 0x3fffff
	v_and_b32_e32 v5, 0x400000, v0
	v_and_or_b32 v1, v0, s4, v1
	v_cmp_ne_u32_e32 vcc, 0, v5
	v_cmp_ne_u32_e64 s[4:5], 0, v1
	s_and_b64 s[4:5], vcc, s[4:5]
	v_lshrrev_b32_e32 v4, 23, v0
	v_cndmask_b32_e64 v1, 0, 1, s[4:5]
	v_add_u32_e32 v4, v4, v1
; %bb.179:
	s_or_b64 exec, exec, s[6:7]
	s_mov_b64 s[6:7], -1
	s_mov_b64 s[4:5], 0
	global_store_byte v[2:3], v4, off
.LBB23_180:
	s_mov_b64 s[8:9], 0
.LBB23_181:
	s_and_b64 vcc, exec, s[8:9]
	s_cbranch_vccz .LBB23_184
; %bb.182:
	s_cmp_eq_u32 s13, 29
	s_mov_b64 s[4:5], -1
	s_cbranch_scc0 .LBB23_184
; %bb.183:
	v_trunc_f32_e32 v1, v0
	v_mul_f32_e32 v4, 0x2f800000, v1
	v_floor_f32_e32 v4, v4
	v_fmac_f32_e32 v1, 0xcf800000, v4
	v_cvt_u32_f32_e32 v5, v4
	v_cvt_u32_f32_e32 v4, v1
	s_mov_b64 s[6:7], -1
	s_mov_b64 s[4:5], 0
	s_mov_b64 s[8:9], 0
	global_store_dwordx2 v[2:3], v[4:5], off
	s_branch .LBB23_185
.LBB23_184:
	s_mov_b64 s[8:9], 0
.LBB23_185:
	s_and_b64 vcc, exec, s[8:9]
	s_cbranch_vccz .LBB23_201
; %bb.186:
	s_cmp_lt_i32 s13, 27
	s_mov_b64 s[6:7], -1
	s_cbranch_scc1 .LBB23_192
; %bb.187:
	v_cvt_u32_f32_e32 v1, v0
	s_cmp_gt_i32 s13, 27
	s_cbranch_scc0 .LBB23_189
; %bb.188:
	s_mov_b64 s[6:7], 0
	global_store_dword v[2:3], v1, off
.LBB23_189:
	s_andn2_b64 vcc, exec, s[6:7]
	s_cbranch_vccnz .LBB23_191
; %bb.190:
	global_store_short v[2:3], v1, off
.LBB23_191:
	s_mov_b64 s[6:7], 0
.LBB23_192:
	s_andn2_b64 vcc, exec, s[6:7]
	s_cbranch_vccnz .LBB23_200
; %bb.193:
	v_and_b32_e32 v1, 0x7fffffff, v0
	s_mov_b32 s6, 0x43800000
	v_cmp_gt_u32_e32 vcc, s6, v1
	v_mov_b32_e32 v4, 0x80
	s_and_saveexec_b64 s[6:7], vcc
	s_cbranch_execz .LBB23_199
; %bb.194:
	s_mov_b32 s8, 0x3bffffff
	v_cmp_lt_u32_e32 vcc, s8, v1
	s_mov_b64 s[8:9], 0
                                        ; implicit-def: $vgpr1
	s_and_saveexec_b64 s[10:11], vcc
	s_xor_b64 s[10:11], exec, s[10:11]
	s_cbranch_execz .LBB23_311
; %bb.195:
	v_bfe_u32 v1, v0, 20, 1
	s_mov_b32 s14, 0x487ffff
	v_add3_u32 v1, v0, v1, s14
	s_mov_b64 s[8:9], exec
	v_lshrrev_b32_e32 v1, 20, v1
	s_andn2_saveexec_b64 s[10:11], s[10:11]
	s_cbranch_execnz .LBB23_312
.LBB23_196:
	s_or_b64 exec, exec, s[10:11]
	v_mov_b32_e32 v4, 0
	s_and_saveexec_b64 s[10:11], s[8:9]
.LBB23_197:
	v_lshrrev_b32_e32 v4, 24, v0
	s_movk_i32 s8, 0x80
	v_and_or_b32 v4, v4, s8, v1
.LBB23_198:
	s_or_b64 exec, exec, s[10:11]
.LBB23_199:
	s_or_b64 exec, exec, s[6:7]
	global_store_byte v[2:3], v4, off
.LBB23_200:
	s_mov_b64 s[6:7], -1
.LBB23_201:
	s_mov_b64 s[8:9], 0
.LBB23_202:
	s_and_b64 vcc, exec, s[8:9]
	s_cbranch_vccz .LBB23_243
; %bb.203:
	s_cmp_gt_i32 s13, 22
	s_mov_b64 s[8:9], -1
	s_cbranch_scc0 .LBB23_235
; %bb.204:
	s_cmp_lt_i32 s13, 24
	s_mov_b64 s[6:7], -1
	s_cbranch_scc1 .LBB23_224
; %bb.205:
	s_cmp_gt_i32 s13, 24
	s_cbranch_scc0 .LBB23_213
; %bb.206:
	v_and_b32_e32 v1, 0x7fffffff, v0
	s_mov_b32 s6, 0x47800000
	v_cmp_gt_u32_e32 vcc, s6, v1
	v_mov_b32_e32 v4, 0x80
	s_and_saveexec_b64 s[6:7], vcc
	s_cbranch_execz .LBB23_212
; %bb.207:
	s_mov_b32 s8, 0x37ffffff
	v_cmp_lt_u32_e32 vcc, s8, v1
	s_mov_b64 s[8:9], 0
                                        ; implicit-def: $vgpr1
	s_and_saveexec_b64 s[10:11], vcc
	s_xor_b64 s[10:11], exec, s[10:11]
	s_cbranch_execz .LBB23_314
; %bb.208:
	v_bfe_u32 v1, v0, 21, 1
	s_mov_b32 s14, 0x88fffff
	v_add3_u32 v1, v0, v1, s14
	s_mov_b64 s[8:9], exec
	v_lshrrev_b32_e32 v1, 21, v1
	s_andn2_saveexec_b64 s[10:11], s[10:11]
	s_cbranch_execnz .LBB23_315
.LBB23_209:
	s_or_b64 exec, exec, s[10:11]
	v_mov_b32_e32 v4, 0
	s_and_saveexec_b64 s[10:11], s[8:9]
.LBB23_210:
	v_lshrrev_b32_e32 v4, 24, v0
	s_movk_i32 s8, 0x80
	v_and_or_b32 v4, v4, s8, v1
.LBB23_211:
	s_or_b64 exec, exec, s[10:11]
.LBB23_212:
	s_or_b64 exec, exec, s[6:7]
	s_mov_b64 s[6:7], 0
	global_store_byte v[2:3], v4, off
.LBB23_213:
	s_and_b64 vcc, exec, s[6:7]
	s_cbranch_vccz .LBB23_223
; %bb.214:
	v_and_b32_e32 v4, 0x7fffffff, v0
	s_mov_b32 s6, 0x43f00000
	v_cmp_gt_u32_e32 vcc, s6, v4
                                        ; implicit-def: $vgpr1
	s_and_saveexec_b64 s[6:7], vcc
	s_xor_b64 s[6:7], exec, s[6:7]
	s_cbranch_execz .LBB23_220
; %bb.215:
	s_mov_b32 s8, 0x3c7fffff
	v_cmp_lt_u32_e32 vcc, s8, v4
                                        ; implicit-def: $vgpr1
	s_and_saveexec_b64 s[8:9], vcc
	s_xor_b64 s[8:9], exec, s[8:9]
; %bb.216:
	v_bfe_u32 v1, v0, 20, 1
	s_mov_b32 s10, 0x407ffff
	v_add3_u32 v1, v0, v1, s10
	v_lshrrev_b32_e32 v4, 20, v1
	v_and_b32_e32 v1, 0xff00000, v1
	s_mov_b32 s10, 0x7f00000
	v_mov_b32_e32 v5, 0x7e
	v_cmp_ne_u32_e32 vcc, s10, v1
	v_cndmask_b32_e32 v1, v5, v4, vcc
; %bb.217:
	s_andn2_saveexec_b64 s[8:9], s[8:9]
; %bb.218:
	s_mov_b32 s10, 0x46800000
	v_add_f32_e64 v1, |v0|, s10
; %bb.219:
	s_or_b64 exec, exec, s[8:9]
                                        ; implicit-def: $vgpr4
.LBB23_220:
	s_andn2_saveexec_b64 s[6:7], s[6:7]
; %bb.221:
	s_mov_b32 s8, 0x7f800000
	v_mov_b32_e32 v1, 0x7e
	v_mov_b32_e32 v5, 0x7f
	v_cmp_lt_u32_e32 vcc, s8, v4
	v_cndmask_b32_e32 v1, v1, v5, vcc
; %bb.222:
	s_or_b64 exec, exec, s[6:7]
	v_lshrrev_b32_e32 v4, 24, v0
	s_movk_i32 s6, 0x80
	v_and_or_b32 v1, v4, s6, v1
	global_store_byte v[2:3], v1, off
.LBB23_223:
	s_mov_b64 s[6:7], 0
.LBB23_224:
	s_andn2_b64 vcc, exec, s[6:7]
	s_cbranch_vccnz .LBB23_234
; %bb.225:
	v_and_b32_e32 v4, 0x7fffffff, v0
	s_mov_b32 s6, 0x47800000
	v_cmp_gt_u32_e32 vcc, s6, v4
                                        ; implicit-def: $vgpr1
	s_and_saveexec_b64 s[6:7], vcc
	s_xor_b64 s[6:7], exec, s[6:7]
	s_cbranch_execz .LBB23_231
; %bb.226:
	s_mov_b32 s8, 0x387fffff
	v_cmp_lt_u32_e32 vcc, s8, v4
                                        ; implicit-def: $vgpr1
	s_and_saveexec_b64 s[8:9], vcc
	s_xor_b64 s[8:9], exec, s[8:9]
; %bb.227:
	v_bfe_u32 v1, v0, 21, 1
	s_mov_b32 s10, 0x80fffff
	v_add3_u32 v1, v0, v1, s10
	v_lshrrev_b32_e32 v1, 21, v1
; %bb.228:
	s_andn2_saveexec_b64 s[8:9], s[8:9]
; %bb.229:
	s_mov_b32 s10, 0x43000000
	v_add_f32_e64 v1, |v0|, s10
; %bb.230:
	s_or_b64 exec, exec, s[8:9]
                                        ; implicit-def: $vgpr4
.LBB23_231:
	s_andn2_saveexec_b64 s[6:7], s[6:7]
; %bb.232:
	s_mov_b32 s8, 0x7f800000
	v_mov_b32_e32 v1, 0x7c
	v_mov_b32_e32 v5, 0x7f
	v_cmp_lt_u32_e32 vcc, s8, v4
	v_cndmask_b32_e32 v1, v1, v5, vcc
; %bb.233:
	s_or_b64 exec, exec, s[6:7]
	v_lshrrev_b32_e32 v4, 24, v0
	s_movk_i32 s6, 0x80
	v_and_or_b32 v1, v4, s6, v1
	global_store_byte v[2:3], v1, off
.LBB23_234:
	s_mov_b64 s[8:9], 0
	s_mov_b64 s[6:7], -1
.LBB23_235:
	s_andn2_b64 vcc, exec, s[8:9]
	s_cbranch_vccnz .LBB23_243
; %bb.236:
	s_cmp_gt_i32 s13, 14
	s_mov_b64 s[8:9], -1
	s_cbranch_scc0 .LBB23_240
; %bb.237:
	s_cmp_eq_u32 s13, 15
	s_mov_b64 s[4:5], -1
	s_cbranch_scc0 .LBB23_239
; %bb.238:
	v_bfe_u32 v1, v0, 16, 1
	s_movk_i32 s4, 0x7fff
	v_add3_u32 v1, v0, v1, s4
	v_cmp_o_f32_e32 vcc, v0, v0
	v_mov_b32_e32 v4, 0x7fc0
	v_cndmask_b32_sdwa v1, v4, v1, vcc dst_sel:DWORD dst_unused:UNUSED_PAD src0_sel:DWORD src1_sel:WORD_1
	global_store_short v[2:3], v1, off
	s_mov_b64 s[6:7], -1
	s_mov_b64 s[4:5], 0
.LBB23_239:
	s_mov_b64 s[8:9], 0
.LBB23_240:
	s_and_b64 vcc, exec, s[8:9]
	s_cbranch_vccz .LBB23_243
; %bb.241:
	s_cmp_eq_u32 s13, 11
	s_mov_b64 s[4:5], -1
	s_cbranch_scc0 .LBB23_243
; %bb.242:
	v_cmp_neq_f32_e32 vcc, 0, v0
	v_cndmask_b32_e64 v1, 0, 1, vcc
	s_mov_b64 s[6:7], -1
	s_mov_b64 s[4:5], 0
	global_store_byte v[2:3], v1, off
.LBB23_243:
	s_branch .LBB23_165
.LBB23_244:
	s_and_b32 s8, 0xffff, s12
	s_cmp_lt_i32 s8, 5
	s_mov_b64 s[6:7], -1
	s_cbranch_scc1 .LBB23_265
; %bb.245:
	s_cmp_lt_i32 s8, 8
	s_cbranch_scc1 .LBB23_255
; %bb.246:
	s_cmp_lt_i32 s8, 9
	s_cbranch_scc1 .LBB23_252
; %bb.247:
	s_cmp_gt_i32 s8, 9
	s_cbranch_scc0 .LBB23_249
; %bb.248:
	v_cvt_f64_f32_e32 v[4:5], v0
	v_mov_b32_e32 v6, 0
	v_mov_b32_e32 v7, v6
	s_mov_b64 s[6:7], 0
	global_store_dwordx4 v[2:3], v[4:7], off
.LBB23_249:
	s_andn2_b64 vcc, exec, s[6:7]
	s_cbranch_vccnz .LBB23_251
; %bb.250:
	v_mov_b32_e32 v1, 0
	global_store_dwordx2 v[2:3], v[0:1], off
.LBB23_251:
	s_mov_b64 s[6:7], 0
.LBB23_252:
	s_andn2_b64 vcc, exec, s[6:7]
	s_cbranch_vccnz .LBB23_254
; %bb.253:
	v_cvt_f16_f32_e32 v1, v0
	global_store_dword v[2:3], v1, off
.LBB23_254:
	s_mov_b64 s[6:7], 0
.LBB23_255:
	s_andn2_b64 vcc, exec, s[6:7]
	s_cbranch_vccnz .LBB23_264
; %bb.256:
	s_cmp_lt_i32 s8, 6
	s_mov_b64 s[6:7], -1
	s_cbranch_scc1 .LBB23_262
; %bb.257:
	s_cmp_gt_i32 s8, 6
	s_cbranch_scc0 .LBB23_259
; %bb.258:
	v_cvt_f64_f32_e32 v[4:5], v0
	s_mov_b64 s[6:7], 0
	global_store_dwordx2 v[2:3], v[4:5], off
.LBB23_259:
	s_andn2_b64 vcc, exec, s[6:7]
	s_cbranch_vccnz .LBB23_261
; %bb.260:
	global_store_dword v[2:3], v0, off
.LBB23_261:
	s_mov_b64 s[6:7], 0
.LBB23_262:
	s_andn2_b64 vcc, exec, s[6:7]
	s_cbranch_vccnz .LBB23_264
; %bb.263:
	v_cvt_f16_f32_e32 v1, v0
	global_store_short v[2:3], v1, off
.LBB23_264:
	s_mov_b64 s[6:7], 0
.LBB23_265:
	s_andn2_b64 vcc, exec, s[6:7]
	s_cbranch_vccnz .LBB23_281
; %bb.266:
	s_cmp_lt_i32 s8, 2
	s_mov_b64 s[6:7], -1
	s_cbranch_scc1 .LBB23_276
; %bb.267:
	s_cmp_lt_i32 s8, 3
	s_cbranch_scc1 .LBB23_273
; %bb.268:
	s_cmp_gt_i32 s8, 3
	s_cbranch_scc0 .LBB23_270
; %bb.269:
	v_trunc_f32_e32 v1, v0
	s_mov_b32 s6, 0x2f800000
	v_mul_f32_e64 v4, |v1|, s6
	v_floor_f32_e32 v4, v4
	s_mov_b32 s6, 0xcf800000
	v_cvt_u32_f32_e32 v5, v4
	v_fma_f32 v4, v4, s6, |v1|
	v_cvt_u32_f32_e32 v4, v4
	v_ashrrev_i32_e32 v1, 31, v1
	v_xor_b32_e32 v5, v5, v1
	s_mov_b64 s[6:7], 0
	v_xor_b32_e32 v4, v4, v1
	v_sub_co_u32_e32 v4, vcc, v4, v1
	v_subb_co_u32_e32 v5, vcc, v5, v1, vcc
	global_store_dwordx2 v[2:3], v[4:5], off
.LBB23_270:
	s_andn2_b64 vcc, exec, s[6:7]
	s_cbranch_vccnz .LBB23_272
; %bb.271:
	v_cvt_i32_f32_e32 v1, v0
	global_store_dword v[2:3], v1, off
.LBB23_272:
	s_mov_b64 s[6:7], 0
.LBB23_273:
	s_andn2_b64 vcc, exec, s[6:7]
	s_cbranch_vccnz .LBB23_275
; %bb.274:
	v_cvt_i32_f32_e32 v1, v0
	global_store_short v[2:3], v1, off
.LBB23_275:
	s_mov_b64 s[6:7], 0
.LBB23_276:
	s_andn2_b64 vcc, exec, s[6:7]
	s_cbranch_vccnz .LBB23_281
; %bb.277:
	s_cmp_gt_i32 s8, 0
	s_mov_b64 s[6:7], -1
	s_cbranch_scc0 .LBB23_279
; %bb.278:
	v_cvt_i32_f32_e32 v1, v0
	s_mov_b64 s[6:7], 0
	global_store_byte v[2:3], v1, off
.LBB23_279:
	s_andn2_b64 vcc, exec, s[6:7]
	s_cbranch_vccnz .LBB23_281
; %bb.280:
	v_trunc_f32_e32 v0, v0
	s_mov_b32 s6, 0x2f800000
	v_mul_f32_e64 v1, |v0|, s6
	v_floor_f32_e32 v1, v1
	s_mov_b32 s6, 0xcf800000
	v_fma_f32 v1, v1, s6, |v0|
	v_cvt_u32_f32_e32 v1, v1
	v_ashrrev_i32_e32 v0, 31, v0
	v_xor_b32_e32 v1, v1, v0
	v_sub_u32_e32 v0, v1, v0
	global_store_byte v[2:3], v0, off
.LBB23_281:
	s_branch .LBB23_166
.LBB23_282:
	s_mov_b64 s[6:7], 0
                                        ; implicit-def: $vgpr23
.LBB23_283:
	s_andn2_b64 s[8:9], s[62:63], exec
	s_and_b64 s[4:5], s[4:5], exec
	s_or_b64 s[66:67], s[8:9], s[4:5]
	s_orn2_b64 s[8:9], s[6:7], exec
.LBB23_284:
	s_or_b64 exec, exec, s[68:69]
	s_mov_b64 s[4:5], 0
	s_mov_b64 s[6:7], 0
                                        ; implicit-def: $sgpr14
                                        ; implicit-def: $vgpr2_vgpr3
                                        ; implicit-def: $vgpr0
	s_and_saveexec_b64 s[68:69], s[8:9]
	s_cbranch_execz .LBB23_525
; %bb.285:
	v_cmp_gt_i32_e32 vcc, s74, v23
	s_mov_b64 s[6:7], -1
	s_mov_b64 s[72:73], s[66:67]
	s_and_saveexec_b64 s[70:71], vcc
	s_cbranch_execz .LBB23_429
; %bb.286:
	s_andn2_b64 vcc, exec, s[50:51]
	s_cbranch_vccnz .LBB23_291
; %bb.287:
	s_andn2_b64 vcc, exec, s[60:61]
	s_cbranch_vccnz .LBB23_292
; %bb.288:
	s_add_i32 s31, s78, 1
	s_cmp_eq_u32 s76, 2
	s_cbranch_scc1 .LBB23_293
; %bb.289:
	s_and_b32 s30, s31, 28
	v_mov_b32_e32 v2, 0
	s_mov_b32 s72, 0
	s_mov_b64 s[24:25], s[34:35]
	s_mov_b64 s[26:27], s[58:59]
	v_mov_b32_e32 v21, 0
	v_mov_b32_e32 v0, v23
.LBB23_290:                             ; =>This Inner Loop Header: Depth=1
	s_load_dwordx8 s[12:19], s[24:25], 0x4
	s_load_dwordx4 s[20:23], s[24:25], 0x24
	s_load_dwordx8 s[4:11], s[26:27], 0x0
	s_add_u32 s24, s24, 48
	s_addc_u32 s25, s25, 0
	s_waitcnt lgkmcnt(0)
	v_mul_hi_u32 v1, s13, v0
	s_add_i32 s72, s72, 4
	s_add_u32 s26, s26, 32
	s_addc_u32 s27, s27, 0
	v_add_u32_e32 v1, v0, v1
	v_lshrrev_b32_e32 v1, s14, v1
	v_mul_lo_u32 v3, v1, s12
	v_mul_hi_u32 v4, s16, v1
	s_cmp_eq_u32 s30, s72
	v_sub_u32_e32 v0, v0, v3
	v_add_u32_e32 v3, v1, v4
	v_mul_lo_u32 v4, v0, s4
	v_mul_lo_u32 v5, v0, s5
	v_lshrrev_b32_e32 v0, s17, v3
	v_mul_lo_u32 v3, v0, s15
	v_mul_hi_u32 v6, s19, v0
	v_sub_u32_e32 v1, v1, v3
	v_add_u32_e32 v3, v0, v6
	v_lshrrev_b32_e32 v3, s20, v3
	v_mul_hi_u32 v7, s22, v3
	v_mul_lo_u32 v8, v3, s18
	v_mul_lo_u32 v6, v1, s6
	;; [unrolled: 1-line block ×3, first 2 shown]
	v_sub_u32_e32 v8, v0, v8
	v_add_u32_e32 v0, v3, v7
	v_lshrrev_b32_e32 v0, s23, v0
	v_mul_lo_u32 v7, v0, s21
	v_mul_lo_u32 v9, v8, s8
	;; [unrolled: 1-line block ×3, first 2 shown]
	v_add3_u32 v4, v4, v21, v6
	v_sub_u32_e32 v3, v3, v7
	v_mul_lo_u32 v7, v3, s10
	v_mul_lo_u32 v3, v3, s11
	v_add3_u32 v1, v5, v2, v1
	v_add3_u32 v21, v9, v4, v7
	;; [unrolled: 1-line block ×3, first 2 shown]
	s_cbranch_scc0 .LBB23_290
	s_branch .LBB23_294
.LBB23_291:
	s_mov_b64 s[4:5], -1
                                        ; implicit-def: $vgpr21
                                        ; implicit-def: $vgpr2
	s_branch .LBB23_298
.LBB23_292:
	v_mov_b32_e32 v21, 0
	v_mov_b32_e32 v2, 0
	s_branch .LBB23_297
.LBB23_293:
	s_mov_b32 s30, 0
	v_mov_b32_e32 v21, 0
	v_mov_b32_e32 v2, 0
	;; [unrolled: 1-line block ×3, first 2 shown]
.LBB23_294:
	s_and_b32 s8, s31, 3
	s_cmp_eq_u32 s8, 0
	s_cbranch_scc1 .LBB23_297
; %bb.295:
	s_lshl_b32 s4, s30, 3
	s_add_u32 s4, s34, s4
	s_addc_u32 s5, s35, 0
	s_add_u32 s4, s4, 0xc4
	s_addc_u32 s5, s5, 0
	s_mul_i32 s6, s30, 12
	s_add_u32 s6, s34, s6
	s_addc_u32 s7, s35, 0
.LBB23_296:                             ; =>This Inner Loop Header: Depth=1
	s_load_dwordx2 s[10:11], s[6:7], 0x4
	s_load_dword s9, s[6:7], 0xc
	s_load_dwordx2 s[12:13], s[4:5], 0x0
	s_add_u32 s6, s6, 12
	s_addc_u32 s7, s7, 0
	s_waitcnt lgkmcnt(0)
	v_mul_hi_u32 v1, s11, v0
	s_add_u32 s4, s4, 8
	s_addc_u32 s5, s5, 0
	s_add_i32 s8, s8, -1
	v_add_u32_e32 v1, v0, v1
	v_lshrrev_b32_e32 v1, s9, v1
	v_mul_lo_u32 v3, v1, s10
	s_cmp_lg_u32 s8, 0
	v_sub_u32_e32 v0, v0, v3
	v_mad_u64_u32 v[21:22], s[10:11], v0, s12, v[21:22]
	v_mad_u64_u32 v[2:3], s[10:11], v0, s13, v[2:3]
	v_mov_b32_e32 v0, v1
	s_cbranch_scc1 .LBB23_296
.LBB23_297:
	s_mov_b64 s[4:5], 0
.LBB23_298:
	s_andn2_b64 vcc, exec, s[4:5]
	s_cbranch_vccnz .LBB23_301
; %bb.299:
	s_waitcnt lgkmcnt(0)
	v_mul_hi_u32 v0, s45, v23
	s_andn2_b64 vcc, exec, s[56:57]
	v_add_u32_e32 v0, v23, v0
	v_lshrrev_b32_e32 v0, s46, v0
	v_mul_lo_u32 v1, v0, s44
	v_sub_u32_e32 v1, v23, v1
	v_mul_lo_u32 v21, v1, s40
	v_mul_lo_u32 v2, v1, s41
	s_cbranch_vccnz .LBB23_301
; %bb.300:
	v_mul_hi_u32 v1, s54, v0
	v_add_u32_e32 v1, v0, v1
	v_lshrrev_b32_e32 v1, s55, v1
	v_mul_lo_u32 v1, v1, s47
	v_sub_u32_e32 v0, v0, v1
	v_mad_u64_u32 v[21:22], s[4:5], v0, s42, v[21:22]
	v_mad_u64_u32 v[2:3], s[4:5], v0, s43, v[2:3]
.LBB23_301:
	s_getpc_b64 s[4:5]
	s_add_u32 s4, s4, _ZN2at6native6invokeIZZZNS0_12_GLOBAL__N_121bessel_y0_kernel_cudaERNS_18TensorIteratorBaseEENKUlvE_clEvENKUlvE0_clEvEUlfE_j15function_traitsIS7_EEENT1_11result_typeERKT_PrKPcPKT0_PKN3c1010ScalarTypeEi@rel32@lo+4
	s_addc_u32 s5, s5, _ZN2at6native6invokeIZZZNS0_12_GLOBAL__N_121bessel_y0_kernel_cudaERNS_18TensorIteratorBaseEENKUlvE_clEvENKUlvE0_clEvEUlfE_j15function_traitsIS7_EEENT1_11result_typeERKT_PrKPcPKT0_PKN3c1010ScalarTypeEi@rel32@hi+12
	s_waitcnt lgkmcnt(0)
	v_mov_b32_e32 v0, s38
	v_mov_b32_e32 v1, s39
	v_mov_b32_e32 v3, v20
	s_swappc_b64 s[30:31], s[4:5]
	v_mov_b32_e32 v1, s37
	s_and_b32 s12, s77, 0xff
	v_add_co_u32_e32 v2, vcc, s36, v21
	s_cmp_lt_i32 s12, 11
	v_addc_co_u32_e32 v3, vcc, 0, v1, vcc
	s_cbranch_scc1 .LBB23_308
; %bb.302:
	s_and_b32 s13, 0xffff, s12
	s_cmp_gt_i32 s13, 25
	s_cbranch_scc0 .LBB23_309
; %bb.303:
	s_cmp_gt_i32 s13, 28
	s_cbranch_scc0 .LBB23_310
; %bb.304:
	;; [unrolled: 3-line block ×4, first 2 shown]
	s_mov_b64 s[8:9], 0
	s_mov_b64 s[4:5], -1
	s_cmp_eq_u32 s13, 46
	s_mov_b64 s[6:7], 0
	s_cbranch_scc0 .LBB23_317
; %bb.307:
	v_bfe_u32 v1, v0, 16, 1
	s_movk_i32 s4, 0x7fff
	v_add3_u32 v1, v0, v1, s4
	v_cmp_o_f32_e32 vcc, v0, v0
	v_mov_b32_e32 v4, 0x7fc0
	v_cndmask_b32_sdwa v1, v4, v1, vcc dst_sel:DWORD dst_unused:UNUSED_PAD src0_sel:DWORD src1_sel:WORD_1
	global_store_dword v[2:3], v1, off
	s_mov_b64 s[6:7], -1
	s_mov_b64 s[4:5], 0
	s_branch .LBB23_317
.LBB23_308:
	s_mov_b64 s[8:9], -1
	s_mov_b64 s[6:7], 0
	s_mov_b64 s[4:5], s[66:67]
	s_branch .LBB23_386
.LBB23_309:
	s_mov_b64 s[8:9], -1
	s_mov_b64 s[6:7], 0
	s_mov_b64 s[4:5], s[66:67]
	s_branch .LBB23_344
.LBB23_310:
	s_mov_b64 s[8:9], -1
	s_mov_b64 s[6:7], 0
	s_mov_b64 s[4:5], s[66:67]
	s_branch .LBB23_327
.LBB23_311:
	s_andn2_saveexec_b64 s[10:11], s[10:11]
	s_cbranch_execz .LBB23_196
.LBB23_312:
	s_mov_b32 s14, 0x46000000
	v_add_f32_e64 v1, |v0|, s14
	v_and_b32_e32 v1, 0xff, v1
	v_cmp_ne_u32_e32 vcc, 0, v1
	s_andn2_b64 s[8:9], s[8:9], exec
	s_and_b64 s[14:15], vcc, exec
	s_or_b64 s[8:9], s[8:9], s[14:15]
	s_or_b64 exec, exec, s[10:11]
	v_mov_b32_e32 v4, 0
	s_and_saveexec_b64 s[10:11], s[8:9]
	s_cbranch_execnz .LBB23_197
	s_branch .LBB23_198
.LBB23_313:
	s_mov_b64 s[8:9], -1
	s_mov_b64 s[6:7], 0
	s_mov_b64 s[4:5], s[66:67]
	s_branch .LBB23_323
.LBB23_314:
	s_andn2_saveexec_b64 s[10:11], s[10:11]
	s_cbranch_execz .LBB23_209
.LBB23_315:
	s_mov_b32 s14, 0x42800000
	v_add_f32_e64 v1, |v0|, s14
	v_and_b32_e32 v1, 0xff, v1
	v_cmp_ne_u32_e32 vcc, 0, v1
	s_andn2_b64 s[8:9], s[8:9], exec
	s_and_b64 s[14:15], vcc, exec
	s_or_b64 s[8:9], s[8:9], s[14:15]
	s_or_b64 exec, exec, s[10:11]
	v_mov_b32_e32 v4, 0
	s_and_saveexec_b64 s[10:11], s[8:9]
	s_cbranch_execnz .LBB23_210
	s_branch .LBB23_211
.LBB23_316:
	s_mov_b64 s[8:9], -1
	s_mov_b64 s[6:7], 0
	s_mov_b64 s[4:5], s[66:67]
.LBB23_317:
	s_and_b64 vcc, exec, s[8:9]
	s_cbranch_vccz .LBB23_322
; %bb.318:
	s_cmp_eq_u32 s13, 44
	s_mov_b64 s[4:5], -1
	s_cbranch_scc0 .LBB23_322
; %bb.319:
	v_bfe_u32 v1, v0, 23, 8
	s_movk_i32 s4, 0xff
	v_cmp_ne_u32_e32 vcc, s4, v1
	v_mov_b32_e32 v4, 0xff
	s_and_saveexec_b64 s[6:7], vcc
; %bb.320:
	s_mov_b32 s4, 0x3fffff
	v_and_b32_e32 v5, 0x400000, v0
	v_and_or_b32 v1, v0, s4, v1
	v_cmp_ne_u32_e32 vcc, 0, v5
	v_cmp_ne_u32_e64 s[4:5], 0, v1
	s_and_b64 s[4:5], vcc, s[4:5]
	v_lshrrev_b32_e32 v4, 23, v0
	v_cndmask_b32_e64 v1, 0, 1, s[4:5]
	v_add_u32_e32 v4, v4, v1
; %bb.321:
	s_or_b64 exec, exec, s[6:7]
	s_mov_b64 s[6:7], -1
	s_mov_b64 s[4:5], 0
	global_store_byte v[2:3], v4, off
.LBB23_322:
	s_mov_b64 s[8:9], 0
.LBB23_323:
	s_and_b64 vcc, exec, s[8:9]
	s_cbranch_vccz .LBB23_326
; %bb.324:
	s_cmp_eq_u32 s13, 29
	s_mov_b64 s[4:5], -1
	s_cbranch_scc0 .LBB23_326
; %bb.325:
	v_trunc_f32_e32 v1, v0
	v_mul_f32_e32 v4, 0x2f800000, v1
	v_floor_f32_e32 v4, v4
	v_fmac_f32_e32 v1, 0xcf800000, v4
	v_cvt_u32_f32_e32 v5, v4
	v_cvt_u32_f32_e32 v4, v1
	s_mov_b64 s[6:7], -1
	s_mov_b64 s[4:5], 0
	s_mov_b64 s[8:9], 0
	global_store_dwordx2 v[2:3], v[4:5], off
	s_branch .LBB23_327
.LBB23_326:
	s_mov_b64 s[8:9], 0
.LBB23_327:
	s_and_b64 vcc, exec, s[8:9]
	s_cbranch_vccz .LBB23_343
; %bb.328:
	s_cmp_lt_i32 s13, 27
	s_mov_b64 s[6:7], -1
	s_cbranch_scc1 .LBB23_334
; %bb.329:
	v_cvt_u32_f32_e32 v1, v0
	s_cmp_gt_i32 s13, 27
	s_cbranch_scc0 .LBB23_331
; %bb.330:
	s_mov_b64 s[6:7], 0
	global_store_dword v[2:3], v1, off
.LBB23_331:
	s_andn2_b64 vcc, exec, s[6:7]
	s_cbranch_vccnz .LBB23_333
; %bb.332:
	global_store_short v[2:3], v1, off
.LBB23_333:
	s_mov_b64 s[6:7], 0
.LBB23_334:
	s_andn2_b64 vcc, exec, s[6:7]
	s_cbranch_vccnz .LBB23_342
; %bb.335:
	v_and_b32_e32 v1, 0x7fffffff, v0
	s_mov_b32 s6, 0x43800000
	v_cmp_gt_u32_e32 vcc, s6, v1
	v_mov_b32_e32 v4, 0x80
	s_and_saveexec_b64 s[6:7], vcc
	s_cbranch_execz .LBB23_341
; %bb.336:
	s_mov_b32 s8, 0x3bffffff
	v_cmp_lt_u32_e32 vcc, s8, v1
	s_mov_b64 s[8:9], 0
                                        ; implicit-def: $vgpr1
	s_and_saveexec_b64 s[10:11], vcc
	s_xor_b64 s[10:11], exec, s[10:11]
	s_cbranch_execz .LBB23_1112
; %bb.337:
	v_bfe_u32 v1, v0, 20, 1
	s_mov_b32 s14, 0x487ffff
	v_add3_u32 v1, v0, v1, s14
	s_mov_b64 s[8:9], exec
	v_lshrrev_b32_e32 v1, 20, v1
	s_andn2_saveexec_b64 s[10:11], s[10:11]
	s_cbranch_execnz .LBB23_1113
.LBB23_338:
	s_or_b64 exec, exec, s[10:11]
	v_mov_b32_e32 v4, 0
	s_and_saveexec_b64 s[10:11], s[8:9]
.LBB23_339:
	v_lshrrev_b32_e32 v4, 24, v0
	s_movk_i32 s8, 0x80
	v_and_or_b32 v4, v4, s8, v1
.LBB23_340:
	s_or_b64 exec, exec, s[10:11]
.LBB23_341:
	s_or_b64 exec, exec, s[6:7]
	global_store_byte v[2:3], v4, off
.LBB23_342:
	s_mov_b64 s[6:7], -1
.LBB23_343:
	s_mov_b64 s[8:9], 0
.LBB23_344:
	s_and_b64 vcc, exec, s[8:9]
	s_cbranch_vccz .LBB23_385
; %bb.345:
	s_cmp_gt_i32 s13, 22
	s_mov_b64 s[8:9], -1
	s_cbranch_scc0 .LBB23_377
; %bb.346:
	s_cmp_lt_i32 s13, 24
	s_mov_b64 s[6:7], -1
	s_cbranch_scc1 .LBB23_366
; %bb.347:
	s_cmp_gt_i32 s13, 24
	s_cbranch_scc0 .LBB23_355
; %bb.348:
	v_and_b32_e32 v1, 0x7fffffff, v0
	s_mov_b32 s6, 0x47800000
	v_cmp_gt_u32_e32 vcc, s6, v1
	v_mov_b32_e32 v4, 0x80
	s_and_saveexec_b64 s[6:7], vcc
	s_cbranch_execz .LBB23_354
; %bb.349:
	s_mov_b32 s8, 0x37ffffff
	v_cmp_lt_u32_e32 vcc, s8, v1
	s_mov_b64 s[8:9], 0
                                        ; implicit-def: $vgpr1
	s_and_saveexec_b64 s[10:11], vcc
	s_xor_b64 s[10:11], exec, s[10:11]
	s_cbranch_execz .LBB23_1119
; %bb.350:
	v_bfe_u32 v1, v0, 21, 1
	s_mov_b32 s14, 0x88fffff
	v_add3_u32 v1, v0, v1, s14
	s_mov_b64 s[8:9], exec
	v_lshrrev_b32_e32 v1, 21, v1
	s_andn2_saveexec_b64 s[10:11], s[10:11]
	s_cbranch_execnz .LBB23_1120
.LBB23_351:
	s_or_b64 exec, exec, s[10:11]
	v_mov_b32_e32 v4, 0
	s_and_saveexec_b64 s[10:11], s[8:9]
.LBB23_352:
	v_lshrrev_b32_e32 v4, 24, v0
	s_movk_i32 s8, 0x80
	v_and_or_b32 v4, v4, s8, v1
.LBB23_353:
	s_or_b64 exec, exec, s[10:11]
.LBB23_354:
	s_or_b64 exec, exec, s[6:7]
	s_mov_b64 s[6:7], 0
	global_store_byte v[2:3], v4, off
.LBB23_355:
	s_and_b64 vcc, exec, s[6:7]
	s_cbranch_vccz .LBB23_365
; %bb.356:
	v_and_b32_e32 v4, 0x7fffffff, v0
	s_mov_b32 s6, 0x43f00000
	v_cmp_gt_u32_e32 vcc, s6, v4
                                        ; implicit-def: $vgpr1
	s_and_saveexec_b64 s[6:7], vcc
	s_xor_b64 s[6:7], exec, s[6:7]
	s_cbranch_execz .LBB23_362
; %bb.357:
	s_mov_b32 s8, 0x3c7fffff
	v_cmp_lt_u32_e32 vcc, s8, v4
                                        ; implicit-def: $vgpr1
	s_and_saveexec_b64 s[8:9], vcc
	s_xor_b64 s[8:9], exec, s[8:9]
; %bb.358:
	v_bfe_u32 v1, v0, 20, 1
	s_mov_b32 s10, 0x407ffff
	v_add3_u32 v1, v0, v1, s10
	v_lshrrev_b32_e32 v4, 20, v1
	v_and_b32_e32 v1, 0xff00000, v1
	s_mov_b32 s10, 0x7f00000
	v_mov_b32_e32 v5, 0x7e
	v_cmp_ne_u32_e32 vcc, s10, v1
	v_cndmask_b32_e32 v1, v5, v4, vcc
; %bb.359:
	s_andn2_saveexec_b64 s[8:9], s[8:9]
; %bb.360:
	s_mov_b32 s10, 0x46800000
	v_add_f32_e64 v1, |v0|, s10
; %bb.361:
	s_or_b64 exec, exec, s[8:9]
                                        ; implicit-def: $vgpr4
.LBB23_362:
	s_andn2_saveexec_b64 s[6:7], s[6:7]
; %bb.363:
	s_mov_b32 s8, 0x7f800000
	v_mov_b32_e32 v1, 0x7e
	v_mov_b32_e32 v5, 0x7f
	v_cmp_lt_u32_e32 vcc, s8, v4
	v_cndmask_b32_e32 v1, v1, v5, vcc
; %bb.364:
	s_or_b64 exec, exec, s[6:7]
	v_lshrrev_b32_e32 v4, 24, v0
	s_movk_i32 s6, 0x80
	v_and_or_b32 v1, v4, s6, v1
	global_store_byte v[2:3], v1, off
.LBB23_365:
	s_mov_b64 s[6:7], 0
.LBB23_366:
	s_andn2_b64 vcc, exec, s[6:7]
	s_cbranch_vccnz .LBB23_376
; %bb.367:
	v_and_b32_e32 v4, 0x7fffffff, v0
	s_mov_b32 s6, 0x47800000
	v_cmp_gt_u32_e32 vcc, s6, v4
                                        ; implicit-def: $vgpr1
	s_and_saveexec_b64 s[6:7], vcc
	s_xor_b64 s[6:7], exec, s[6:7]
	s_cbranch_execz .LBB23_373
; %bb.368:
	s_mov_b32 s8, 0x387fffff
	v_cmp_lt_u32_e32 vcc, s8, v4
                                        ; implicit-def: $vgpr1
	s_and_saveexec_b64 s[8:9], vcc
	s_xor_b64 s[8:9], exec, s[8:9]
; %bb.369:
	v_bfe_u32 v1, v0, 21, 1
	s_mov_b32 s10, 0x80fffff
	v_add3_u32 v1, v0, v1, s10
	v_lshrrev_b32_e32 v1, 21, v1
; %bb.370:
	s_andn2_saveexec_b64 s[8:9], s[8:9]
; %bb.371:
	s_mov_b32 s10, 0x43000000
	v_add_f32_e64 v1, |v0|, s10
; %bb.372:
	s_or_b64 exec, exec, s[8:9]
                                        ; implicit-def: $vgpr4
.LBB23_373:
	s_andn2_saveexec_b64 s[6:7], s[6:7]
; %bb.374:
	s_mov_b32 s8, 0x7f800000
	v_mov_b32_e32 v1, 0x7c
	v_mov_b32_e32 v5, 0x7f
	v_cmp_lt_u32_e32 vcc, s8, v4
	v_cndmask_b32_e32 v1, v1, v5, vcc
; %bb.375:
	s_or_b64 exec, exec, s[6:7]
	v_lshrrev_b32_e32 v4, 24, v0
	s_movk_i32 s6, 0x80
	v_and_or_b32 v1, v4, s6, v1
	global_store_byte v[2:3], v1, off
.LBB23_376:
	s_mov_b64 s[8:9], 0
	s_mov_b64 s[6:7], -1
.LBB23_377:
	s_andn2_b64 vcc, exec, s[8:9]
	s_cbranch_vccnz .LBB23_385
; %bb.378:
	s_cmp_gt_i32 s13, 14
	s_mov_b64 s[8:9], -1
	s_cbranch_scc0 .LBB23_382
; %bb.379:
	s_cmp_eq_u32 s13, 15
	s_mov_b64 s[4:5], -1
	s_cbranch_scc0 .LBB23_381
; %bb.380:
	v_bfe_u32 v1, v0, 16, 1
	s_movk_i32 s4, 0x7fff
	v_add3_u32 v1, v0, v1, s4
	v_cmp_o_f32_e32 vcc, v0, v0
	v_mov_b32_e32 v4, 0x7fc0
	v_cndmask_b32_sdwa v1, v4, v1, vcc dst_sel:DWORD dst_unused:UNUSED_PAD src0_sel:DWORD src1_sel:WORD_1
	global_store_short v[2:3], v1, off
	s_mov_b64 s[6:7], -1
	s_mov_b64 s[4:5], 0
.LBB23_381:
	s_mov_b64 s[8:9], 0
.LBB23_382:
	s_and_b64 vcc, exec, s[8:9]
	s_cbranch_vccz .LBB23_385
; %bb.383:
	s_cmp_eq_u32 s13, 11
	s_mov_b64 s[4:5], -1
	s_cbranch_scc0 .LBB23_385
; %bb.384:
	v_cmp_neq_f32_e32 vcc, 0, v0
	v_cndmask_b32_e64 v1, 0, 1, vcc
	s_mov_b64 s[6:7], -1
	s_mov_b64 s[4:5], 0
	global_store_byte v[2:3], v1, off
.LBB23_385:
	s_mov_b64 s[8:9], 0
.LBB23_386:
	s_and_b64 vcc, exec, s[8:9]
	s_cbranch_vccz .LBB23_425
; %bb.387:
	s_and_b32 s8, 0xffff, s12
	s_cmp_lt_i32 s8, 5
	s_mov_b64 s[6:7], -1
	s_cbranch_scc1 .LBB23_408
; %bb.388:
	s_cmp_lt_i32 s8, 8
	s_cbranch_scc1 .LBB23_398
; %bb.389:
	s_cmp_lt_i32 s8, 9
	s_cbranch_scc1 .LBB23_395
; %bb.390:
	s_cmp_gt_i32 s8, 9
	s_cbranch_scc0 .LBB23_392
; %bb.391:
	v_cvt_f64_f32_e32 v[4:5], v0
	v_mov_b32_e32 v6, 0
	v_mov_b32_e32 v7, v6
	s_mov_b64 s[6:7], 0
	global_store_dwordx4 v[2:3], v[4:7], off
.LBB23_392:
	s_andn2_b64 vcc, exec, s[6:7]
	s_cbranch_vccnz .LBB23_394
; %bb.393:
	v_mov_b32_e32 v1, 0
	global_store_dwordx2 v[2:3], v[0:1], off
.LBB23_394:
	s_mov_b64 s[6:7], 0
.LBB23_395:
	s_andn2_b64 vcc, exec, s[6:7]
	s_cbranch_vccnz .LBB23_397
; %bb.396:
	v_cvt_f16_f32_e32 v1, v0
	global_store_dword v[2:3], v1, off
.LBB23_397:
	s_mov_b64 s[6:7], 0
.LBB23_398:
	s_andn2_b64 vcc, exec, s[6:7]
	s_cbranch_vccnz .LBB23_407
; %bb.399:
	s_cmp_lt_i32 s8, 6
	s_mov_b64 s[6:7], -1
	s_cbranch_scc1 .LBB23_405
; %bb.400:
	s_cmp_gt_i32 s8, 6
	s_cbranch_scc0 .LBB23_402
; %bb.401:
	v_cvt_f64_f32_e32 v[4:5], v0
	s_mov_b64 s[6:7], 0
	global_store_dwordx2 v[2:3], v[4:5], off
.LBB23_402:
	s_andn2_b64 vcc, exec, s[6:7]
	s_cbranch_vccnz .LBB23_404
; %bb.403:
	global_store_dword v[2:3], v0, off
.LBB23_404:
	s_mov_b64 s[6:7], 0
.LBB23_405:
	s_andn2_b64 vcc, exec, s[6:7]
	s_cbranch_vccnz .LBB23_407
; %bb.406:
	v_cvt_f16_f32_e32 v1, v0
	global_store_short v[2:3], v1, off
.LBB23_407:
	s_mov_b64 s[6:7], 0
.LBB23_408:
	s_andn2_b64 vcc, exec, s[6:7]
	s_cbranch_vccnz .LBB23_424
; %bb.409:
	s_cmp_lt_i32 s8, 2
	s_mov_b64 s[6:7], -1
	s_cbranch_scc1 .LBB23_419
; %bb.410:
	s_cmp_lt_i32 s8, 3
	s_cbranch_scc1 .LBB23_416
; %bb.411:
	s_cmp_gt_i32 s8, 3
	s_cbranch_scc0 .LBB23_413
; %bb.412:
	v_trunc_f32_e32 v1, v0
	s_mov_b32 s6, 0x2f800000
	v_mul_f32_e64 v4, |v1|, s6
	v_floor_f32_e32 v4, v4
	s_mov_b32 s6, 0xcf800000
	v_cvt_u32_f32_e32 v5, v4
	v_fma_f32 v4, v4, s6, |v1|
	v_cvt_u32_f32_e32 v4, v4
	v_ashrrev_i32_e32 v1, 31, v1
	v_xor_b32_e32 v5, v5, v1
	s_mov_b64 s[6:7], 0
	v_xor_b32_e32 v4, v4, v1
	v_sub_co_u32_e32 v4, vcc, v4, v1
	v_subb_co_u32_e32 v5, vcc, v5, v1, vcc
	global_store_dwordx2 v[2:3], v[4:5], off
.LBB23_413:
	s_andn2_b64 vcc, exec, s[6:7]
	s_cbranch_vccnz .LBB23_415
; %bb.414:
	v_cvt_i32_f32_e32 v1, v0
	global_store_dword v[2:3], v1, off
.LBB23_415:
	s_mov_b64 s[6:7], 0
.LBB23_416:
	s_andn2_b64 vcc, exec, s[6:7]
	s_cbranch_vccnz .LBB23_418
; %bb.417:
	v_cvt_i32_f32_e32 v1, v0
	global_store_short v[2:3], v1, off
.LBB23_418:
	s_mov_b64 s[6:7], 0
.LBB23_419:
	s_andn2_b64 vcc, exec, s[6:7]
	s_cbranch_vccnz .LBB23_424
; %bb.420:
	s_cmp_gt_i32 s8, 0
	s_mov_b64 s[6:7], -1
	s_cbranch_scc0 .LBB23_422
; %bb.421:
	v_cvt_i32_f32_e32 v1, v0
	s_mov_b64 s[6:7], 0
	global_store_byte v[2:3], v1, off
.LBB23_422:
	s_andn2_b64 vcc, exec, s[6:7]
	s_cbranch_vccnz .LBB23_424
; %bb.423:
	v_trunc_f32_e32 v0, v0
	s_mov_b32 s6, 0x2f800000
	v_mul_f32_e64 v1, |v0|, s6
	v_floor_f32_e32 v1, v1
	s_mov_b32 s6, 0xcf800000
	v_fma_f32 v1, v1, s6, |v0|
	v_cvt_u32_f32_e32 v1, v1
	v_ashrrev_i32_e32 v0, 31, v0
	v_xor_b32_e32 v1, v1, v0
	v_sub_u32_e32 v0, v1, v0
	global_store_byte v[2:3], v0, off
.LBB23_424:
	s_mov_b64 s[6:7], -1
.LBB23_425:
	s_andn2_b64 vcc, exec, s[6:7]
	s_cbranch_vccnz .LBB23_427
; %bb.426:
	v_add_u32_e32 v23, 0x80, v23
	s_mov_b64 s[6:7], -1
	s_branch .LBB23_428
.LBB23_427:
	s_mov_b64 s[6:7], 0
                                        ; implicit-def: $vgpr23
.LBB23_428:
	s_andn2_b64 s[8:9], s[66:67], exec
	s_and_b64 s[4:5], s[4:5], exec
	s_or_b64 s[72:73], s[8:9], s[4:5]
	s_orn2_b64 s[6:7], s[6:7], exec
.LBB23_429:
	s_or_b64 exec, exec, s[70:71]
	s_mov_b64 s[4:5], 0
	s_mov_b64 s[10:11], 0
                                        ; implicit-def: $sgpr14
                                        ; implicit-def: $vgpr2_vgpr3
                                        ; implicit-def: $vgpr0
	s_and_saveexec_b64 s[70:71], s[6:7]
	s_cbranch_execz .LBB23_524
; %bb.430:
	v_cmp_gt_i32_e32 vcc, s74, v23
	s_mov_b64 s[6:7], 0
	s_mov_b64 s[8:9], s[72:73]
                                        ; implicit-def: $sgpr14
                                        ; implicit-def: $vgpr2_vgpr3
                                        ; implicit-def: $vgpr0
	s_and_saveexec_b64 s[74:75], vcc
	s_cbranch_execz .LBB23_523
; %bb.431:
	s_andn2_b64 vcc, exec, s[50:51]
	s_cbranch_vccnz .LBB23_436
; %bb.432:
	s_andn2_b64 vcc, exec, s[60:61]
	s_cbranch_vccnz .LBB23_437
; %bb.433:
	s_add_i32 s78, s78, 1
	s_cmp_eq_u32 s76, 2
	s_cbranch_scc1 .LBB23_438
; %bb.434:
	s_and_b32 s26, s78, 28
	v_mov_b32_e32 v2, 0
	s_mov_b32 s27, 0
	s_mov_b64 s[24:25], s[34:35]
	v_mov_b32_e32 v21, 0
	v_mov_b32_e32 v0, v23
.LBB23_435:                             ; =>This Inner Loop Header: Depth=1
	s_load_dwordx8 s[12:19], s[24:25], 0x4
	s_load_dwordx4 s[20:23], s[24:25], 0x24
	s_load_dwordx8 s[4:11], s[58:59], 0x0
	s_add_u32 s24, s24, 48
	s_addc_u32 s25, s25, 0
	s_waitcnt lgkmcnt(0)
	v_mul_hi_u32 v1, s13, v0
	s_add_i32 s27, s27, 4
	s_add_u32 s58, s58, 32
	s_addc_u32 s59, s59, 0
	v_add_u32_e32 v1, v0, v1
	v_lshrrev_b32_e32 v1, s14, v1
	v_mul_lo_u32 v3, v1, s12
	v_mul_hi_u32 v4, s16, v1
	s_cmp_eq_u32 s26, s27
	v_sub_u32_e32 v0, v0, v3
	v_add_u32_e32 v3, v1, v4
	v_mul_lo_u32 v4, v0, s4
	v_mul_lo_u32 v5, v0, s5
	v_lshrrev_b32_e32 v0, s17, v3
	v_mul_lo_u32 v3, v0, s15
	v_mul_hi_u32 v6, s19, v0
	v_sub_u32_e32 v1, v1, v3
	v_add_u32_e32 v3, v0, v6
	v_lshrrev_b32_e32 v3, s20, v3
	v_mul_hi_u32 v7, s22, v3
	v_mul_lo_u32 v8, v3, s18
	v_mul_lo_u32 v6, v1, s6
	;; [unrolled: 1-line block ×3, first 2 shown]
	v_sub_u32_e32 v8, v0, v8
	v_add_u32_e32 v0, v3, v7
	v_lshrrev_b32_e32 v0, s23, v0
	v_mul_lo_u32 v7, v0, s21
	v_mul_lo_u32 v9, v8, s8
	;; [unrolled: 1-line block ×3, first 2 shown]
	v_add3_u32 v4, v4, v21, v6
	v_sub_u32_e32 v3, v3, v7
	v_mul_lo_u32 v7, v3, s10
	v_mul_lo_u32 v3, v3, s11
	v_add3_u32 v1, v5, v2, v1
	v_add3_u32 v21, v9, v4, v7
	;; [unrolled: 1-line block ×3, first 2 shown]
	s_cbranch_scc0 .LBB23_435
	s_branch .LBB23_439
.LBB23_436:
	s_mov_b64 s[4:5], -1
                                        ; implicit-def: $vgpr21
                                        ; implicit-def: $vgpr2
	s_branch .LBB23_443
.LBB23_437:
	v_mov_b32_e32 v21, 0
	v_mov_b32_e32 v2, 0
	s_branch .LBB23_442
.LBB23_438:
	s_mov_b32 s26, 0
	v_mov_b32_e32 v21, 0
	v_mov_b32_e32 v2, 0
	;; [unrolled: 1-line block ×3, first 2 shown]
.LBB23_439:
	s_and_b32 s8, s78, 3
	s_cmp_eq_u32 s8, 0
	s_cbranch_scc1 .LBB23_442
; %bb.440:
	s_lshl_b32 s4, s26, 3
	s_add_u32 s4, s34, s4
	s_addc_u32 s5, s35, 0
	s_add_u32 s4, s4, 0xc4
	s_addc_u32 s5, s5, 0
	s_mul_i32 s6, s26, 12
	s_add_u32 s6, s34, s6
	s_addc_u32 s7, s35, 0
.LBB23_441:                             ; =>This Inner Loop Header: Depth=1
	s_load_dwordx2 s[10:11], s[6:7], 0x4
	s_load_dword s9, s[6:7], 0xc
	s_load_dwordx2 s[12:13], s[4:5], 0x0
	s_add_u32 s6, s6, 12
	s_addc_u32 s7, s7, 0
	s_waitcnt lgkmcnt(0)
	v_mul_hi_u32 v1, s11, v0
	s_add_u32 s4, s4, 8
	s_addc_u32 s5, s5, 0
	s_add_i32 s8, s8, -1
	v_add_u32_e32 v1, v0, v1
	v_lshrrev_b32_e32 v1, s9, v1
	v_mul_lo_u32 v3, v1, s10
	s_cmp_lg_u32 s8, 0
	v_sub_u32_e32 v0, v0, v3
	v_mad_u64_u32 v[21:22], s[10:11], v0, s12, v[21:22]
	v_mad_u64_u32 v[2:3], s[10:11], v0, s13, v[2:3]
	v_mov_b32_e32 v0, v1
	s_cbranch_scc1 .LBB23_441
.LBB23_442:
	s_mov_b64 s[4:5], 0
.LBB23_443:
	s_andn2_b64 vcc, exec, s[4:5]
	s_cbranch_vccnz .LBB23_446
; %bb.444:
	s_waitcnt lgkmcnt(0)
	v_mul_hi_u32 v0, s45, v23
	s_andn2_b64 vcc, exec, s[56:57]
	v_add_u32_e32 v0, v23, v0
	v_lshrrev_b32_e32 v0, s46, v0
	v_mul_lo_u32 v1, v0, s44
	v_sub_u32_e32 v1, v23, v1
	v_mul_lo_u32 v21, v1, s40
	v_mul_lo_u32 v2, v1, s41
	s_cbranch_vccnz .LBB23_446
; %bb.445:
	v_mul_hi_u32 v1, s54, v0
	v_add_u32_e32 v1, v0, v1
	v_lshrrev_b32_e32 v1, s55, v1
	v_mul_lo_u32 v1, v1, s47
	v_sub_u32_e32 v0, v0, v1
	v_mad_u64_u32 v[21:22], s[4:5], v0, s42, v[21:22]
	v_mad_u64_u32 v[2:3], s[4:5], v0, s43, v[2:3]
.LBB23_446:
	s_getpc_b64 s[4:5]
	s_add_u32 s4, s4, _ZN2at6native6invokeIZZZNS0_12_GLOBAL__N_121bessel_y0_kernel_cudaERNS_18TensorIteratorBaseEENKUlvE_clEvENKUlvE0_clEvEUlfE_j15function_traitsIS7_EEENT1_11result_typeERKT_PrKPcPKT0_PKN3c1010ScalarTypeEi@rel32@lo+4
	s_addc_u32 s5, s5, _ZN2at6native6invokeIZZZNS0_12_GLOBAL__N_121bessel_y0_kernel_cudaERNS_18TensorIteratorBaseEENKUlvE_clEvENKUlvE0_clEvEUlfE_j15function_traitsIS7_EEENT1_11result_typeERKT_PrKPcPKT0_PKN3c1010ScalarTypeEi@rel32@hi+12
	s_waitcnt lgkmcnt(0)
	v_mov_b32_e32 v0, s38
	v_mov_b32_e32 v1, s39
	;; [unrolled: 1-line block ×3, first 2 shown]
	s_swappc_b64 s[30:31], s[4:5]
	v_mov_b32_e32 v1, s37
	s_and_b32 s14, s77, 0xff
	v_add_co_u32_e32 v2, vcc, s36, v21
	s_cmp_lt_i32 s14, 11
	v_addc_co_u32_e32 v3, vcc, 0, v1, vcc
	s_cbranch_scc1 .LBB23_463
; %bb.447:
	s_and_b32 s15, 0xffff, s14
	s_mov_b64 s[8:9], -1
	s_cmp_gt_i32 s15, 25
	s_mov_b64 s[4:5], s[72:73]
	s_cbranch_scc0 .LBB23_481
; %bb.448:
	s_mov_b64 s[6:7], -1
	s_cmp_gt_i32 s15, 28
	s_mov_b64 s[4:5], s[72:73]
	s_cbranch_scc0 .LBB23_465
; %bb.449:
	s_cmp_gt_i32 s15, 43
	s_mov_b64 s[4:5], s[72:73]
	s_cbranch_scc0 .LBB23_460
; %bb.450:
	;; [unrolled: 4-line block ×3, first 2 shown]
	s_cmp_eq_u32 s15, 46
	s_mov_b64 s[4:5], -1
	s_cbranch_scc0 .LBB23_453
; %bb.452:
	v_bfe_u32 v1, v0, 16, 1
	s_movk_i32 s4, 0x7fff
	v_add3_u32 v1, v0, v1, s4
	v_cmp_o_f32_e32 vcc, v0, v0
	v_mov_b32_e32 v4, 0x7fc0
	v_cndmask_b32_sdwa v1, v4, v1, vcc dst_sel:DWORD dst_unused:UNUSED_PAD src0_sel:DWORD src1_sel:WORD_1
	global_store_dword v[2:3], v1, off
	s_mov_b64 s[4:5], 0
.LBB23_453:
	s_mov_b64 s[6:7], 0
.LBB23_454:
	s_and_b64 vcc, exec, s[6:7]
	s_cbranch_vccz .LBB23_459
; %bb.455:
	s_cmp_eq_u32 s15, 44
	s_mov_b64 s[4:5], -1
	s_cbranch_scc0 .LBB23_459
; %bb.456:
	v_bfe_u32 v1, v0, 23, 8
	s_movk_i32 s4, 0xff
	v_cmp_ne_u32_e32 vcc, s4, v1
	v_mov_b32_e32 v4, 0xff
	s_and_saveexec_b64 s[6:7], vcc
; %bb.457:
	s_mov_b32 s4, 0x3fffff
	v_and_b32_e32 v5, 0x400000, v0
	v_and_or_b32 v1, v0, s4, v1
	v_cmp_ne_u32_e32 vcc, 0, v5
	v_cmp_ne_u32_e64 s[4:5], 0, v1
	s_and_b64 s[4:5], vcc, s[4:5]
	v_lshrrev_b32_e32 v4, 23, v0
	v_cndmask_b32_e64 v1, 0, 1, s[4:5]
	v_add_u32_e32 v4, v4, v1
; %bb.458:
	s_or_b64 exec, exec, s[6:7]
	s_mov_b64 s[4:5], 0
	global_store_byte v[2:3], v4, off
.LBB23_459:
	s_mov_b64 s[6:7], 0
.LBB23_460:
	s_and_b64 vcc, exec, s[6:7]
	s_cbranch_vccz .LBB23_464
; %bb.461:
	s_cmp_eq_u32 s15, 29
	s_mov_b64 s[4:5], -1
	s_cbranch_scc0 .LBB23_464
; %bb.462:
	v_trunc_f32_e32 v1, v0
	v_mul_f32_e32 v4, 0x2f800000, v1
	v_floor_f32_e32 v4, v4
	v_fmac_f32_e32 v1, 0xcf800000, v4
	v_cvt_u32_f32_e32 v5, v4
	v_cvt_u32_f32_e32 v4, v1
	s_mov_b64 s[4:5], 0
	s_mov_b64 s[6:7], 0
	global_store_dwordx2 v[2:3], v[4:5], off
	s_branch .LBB23_465
.LBB23_463:
	s_mov_b64 s[8:9], 0
	s_mov_b64 s[6:7], -1
	s_mov_b64 s[4:5], s[72:73]
	s_branch .LBB23_522
.LBB23_464:
	s_mov_b64 s[6:7], 0
.LBB23_465:
	s_and_b64 vcc, exec, s[6:7]
	s_cbranch_vccz .LBB23_480
; %bb.466:
	s_cmp_lt_i32 s15, 27
	s_mov_b64 s[6:7], -1
	s_cbranch_scc1 .LBB23_472
; %bb.467:
	v_cvt_u32_f32_e32 v1, v0
	s_cmp_gt_i32 s15, 27
	s_cbranch_scc0 .LBB23_469
; %bb.468:
	s_mov_b64 s[6:7], 0
	global_store_dword v[2:3], v1, off
.LBB23_469:
	s_andn2_b64 vcc, exec, s[6:7]
	s_cbranch_vccnz .LBB23_471
; %bb.470:
	global_store_short v[2:3], v1, off
.LBB23_471:
	s_mov_b64 s[6:7], 0
.LBB23_472:
	s_andn2_b64 vcc, exec, s[6:7]
	s_cbranch_vccnz .LBB23_480
; %bb.473:
	v_and_b32_e32 v1, 0x7fffffff, v0
	s_mov_b32 s6, 0x43800000
	v_cmp_gt_u32_e32 vcc, s6, v1
	v_mov_b32_e32 v4, 0x80
	s_and_saveexec_b64 s[6:7], vcc
	s_cbranch_execz .LBB23_479
; %bb.474:
	s_mov_b32 s8, 0x3bffffff
	v_cmp_lt_u32_e32 vcc, s8, v1
	s_mov_b64 s[8:9], 0
                                        ; implicit-def: $vgpr1
	s_and_saveexec_b64 s[10:11], vcc
	s_xor_b64 s[10:11], exec, s[10:11]
	s_cbranch_execz .LBB23_1121
; %bb.475:
	v_bfe_u32 v1, v0, 20, 1
	s_mov_b32 s12, 0x487ffff
	v_add3_u32 v1, v0, v1, s12
	s_mov_b64 s[8:9], exec
	v_lshrrev_b32_e32 v1, 20, v1
	s_andn2_saveexec_b64 s[10:11], s[10:11]
	s_cbranch_execnz .LBB23_1122
.LBB23_476:
	s_or_b64 exec, exec, s[10:11]
	v_mov_b32_e32 v4, 0
	s_and_saveexec_b64 s[10:11], s[8:9]
.LBB23_477:
	v_lshrrev_b32_e32 v4, 24, v0
	s_movk_i32 s8, 0x80
	v_and_or_b32 v4, v4, s8, v1
.LBB23_478:
	s_or_b64 exec, exec, s[10:11]
.LBB23_479:
	s_or_b64 exec, exec, s[6:7]
	global_store_byte v[2:3], v4, off
.LBB23_480:
	s_mov_b64 s[8:9], 0
.LBB23_481:
	s_mov_b64 s[6:7], 0
	s_and_b64 vcc, exec, s[8:9]
	s_cbranch_vccz .LBB23_521
; %bb.482:
	s_cmp_gt_i32 s15, 22
	s_mov_b64 s[8:9], -1
	s_cbranch_scc0 .LBB23_514
; %bb.483:
	s_cmp_lt_i32 s15, 24
	s_cbranch_scc1 .LBB23_503
; %bb.484:
	s_cmp_gt_i32 s15, 24
	s_cbranch_scc0 .LBB23_492
; %bb.485:
	v_and_b32_e32 v1, 0x7fffffff, v0
	s_mov_b32 s8, 0x47800000
	v_cmp_gt_u32_e32 vcc, s8, v1
	v_mov_b32_e32 v4, 0x80
	s_and_saveexec_b64 s[8:9], vcc
	s_cbranch_execz .LBB23_491
; %bb.486:
	s_mov_b32 s10, 0x37ffffff
	v_cmp_lt_u32_e32 vcc, s10, v1
	s_mov_b64 s[10:11], 0
                                        ; implicit-def: $vgpr1
	s_and_saveexec_b64 s[12:13], vcc
	s_xor_b64 s[12:13], exec, s[12:13]
	s_cbranch_execz .LBB23_1125
; %bb.487:
	v_bfe_u32 v1, v0, 21, 1
	s_mov_b32 s16, 0x88fffff
	v_add3_u32 v1, v0, v1, s16
	s_mov_b64 s[10:11], exec
	v_lshrrev_b32_e32 v1, 21, v1
	s_andn2_saveexec_b64 s[12:13], s[12:13]
	s_cbranch_execnz .LBB23_1126
.LBB23_488:
	s_or_b64 exec, exec, s[12:13]
	v_mov_b32_e32 v4, 0
	s_and_saveexec_b64 s[12:13], s[10:11]
.LBB23_489:
	v_lshrrev_b32_e32 v4, 24, v0
	s_movk_i32 s10, 0x80
	v_and_or_b32 v4, v4, s10, v1
.LBB23_490:
	s_or_b64 exec, exec, s[12:13]
.LBB23_491:
	s_or_b64 exec, exec, s[8:9]
	s_mov_b64 s[8:9], 0
	global_store_byte v[2:3], v4, off
.LBB23_492:
	s_and_b64 vcc, exec, s[8:9]
	s_cbranch_vccz .LBB23_502
; %bb.493:
	v_and_b32_e32 v4, 0x7fffffff, v0
	s_mov_b32 s8, 0x43f00000
	v_cmp_gt_u32_e32 vcc, s8, v4
                                        ; implicit-def: $vgpr1
	s_and_saveexec_b64 s[8:9], vcc
	s_xor_b64 s[8:9], exec, s[8:9]
	s_cbranch_execz .LBB23_499
; %bb.494:
	s_mov_b32 s10, 0x3c7fffff
	v_cmp_lt_u32_e32 vcc, s10, v4
                                        ; implicit-def: $vgpr1
	s_and_saveexec_b64 s[10:11], vcc
	s_xor_b64 s[10:11], exec, s[10:11]
; %bb.495:
	v_bfe_u32 v1, v0, 20, 1
	s_mov_b32 s12, 0x407ffff
	v_add3_u32 v1, v0, v1, s12
	v_lshrrev_b32_e32 v4, 20, v1
	v_and_b32_e32 v1, 0xff00000, v1
	s_mov_b32 s12, 0x7f00000
	v_mov_b32_e32 v5, 0x7e
	v_cmp_ne_u32_e32 vcc, s12, v1
	v_cndmask_b32_e32 v1, v5, v4, vcc
; %bb.496:
	s_andn2_saveexec_b64 s[10:11], s[10:11]
; %bb.497:
	s_mov_b32 s12, 0x46800000
	v_add_f32_e64 v1, |v0|, s12
; %bb.498:
	s_or_b64 exec, exec, s[10:11]
                                        ; implicit-def: $vgpr4
.LBB23_499:
	s_andn2_saveexec_b64 s[8:9], s[8:9]
; %bb.500:
	s_mov_b32 s10, 0x7f800000
	v_mov_b32_e32 v1, 0x7e
	v_mov_b32_e32 v5, 0x7f
	v_cmp_lt_u32_e32 vcc, s10, v4
	v_cndmask_b32_e32 v1, v1, v5, vcc
; %bb.501:
	s_or_b64 exec, exec, s[8:9]
	v_lshrrev_b32_e32 v4, 24, v0
	s_movk_i32 s8, 0x80
	v_and_or_b32 v1, v4, s8, v1
	global_store_byte v[2:3], v1, off
.LBB23_502:
	s_mov_b64 s[8:9], 0
.LBB23_503:
	s_andn2_b64 vcc, exec, s[8:9]
	s_cbranch_vccnz .LBB23_513
; %bb.504:
	v_and_b32_e32 v4, 0x7fffffff, v0
	s_mov_b32 s8, 0x47800000
	v_cmp_gt_u32_e32 vcc, s8, v4
                                        ; implicit-def: $vgpr1
	s_and_saveexec_b64 s[8:9], vcc
	s_xor_b64 s[8:9], exec, s[8:9]
	s_cbranch_execz .LBB23_510
; %bb.505:
	s_mov_b32 s10, 0x387fffff
	v_cmp_lt_u32_e32 vcc, s10, v4
                                        ; implicit-def: $vgpr1
	s_and_saveexec_b64 s[10:11], vcc
	s_xor_b64 s[10:11], exec, s[10:11]
; %bb.506:
	v_bfe_u32 v1, v0, 21, 1
	s_mov_b32 s12, 0x80fffff
	v_add3_u32 v1, v0, v1, s12
	v_lshrrev_b32_e32 v1, 21, v1
; %bb.507:
	s_andn2_saveexec_b64 s[10:11], s[10:11]
; %bb.508:
	s_mov_b32 s12, 0x43000000
	v_add_f32_e64 v1, |v0|, s12
; %bb.509:
	s_or_b64 exec, exec, s[10:11]
                                        ; implicit-def: $vgpr4
.LBB23_510:
	s_andn2_saveexec_b64 s[8:9], s[8:9]
; %bb.511:
	s_mov_b32 s10, 0x7f800000
	v_mov_b32_e32 v1, 0x7c
	v_mov_b32_e32 v5, 0x7f
	v_cmp_lt_u32_e32 vcc, s10, v4
	v_cndmask_b32_e32 v1, v1, v5, vcc
; %bb.512:
	s_or_b64 exec, exec, s[8:9]
	v_lshrrev_b32_e32 v4, 24, v0
	s_movk_i32 s8, 0x80
	v_and_or_b32 v1, v4, s8, v1
	global_store_byte v[2:3], v1, off
.LBB23_513:
	s_mov_b64 s[8:9], 0
.LBB23_514:
	s_andn2_b64 vcc, exec, s[8:9]
	s_mov_b64 s[8:9], 0
	s_cbranch_vccnz .LBB23_522
; %bb.515:
	s_cmp_gt_i32 s15, 14
	s_mov_b64 s[10:11], -1
	s_cbranch_scc0 .LBB23_519
; %bb.516:
	s_cmp_eq_u32 s15, 15
	s_mov_b64 s[4:5], -1
	s_cbranch_scc0 .LBB23_518
; %bb.517:
	v_bfe_u32 v1, v0, 16, 1
	s_movk_i32 s4, 0x7fff
	v_add3_u32 v1, v0, v1, s4
	v_cmp_o_f32_e32 vcc, v0, v0
	v_mov_b32_e32 v4, 0x7fc0
	v_cndmask_b32_sdwa v1, v4, v1, vcc dst_sel:DWORD dst_unused:UNUSED_PAD src0_sel:DWORD src1_sel:WORD_1
	global_store_short v[2:3], v1, off
	s_mov_b64 s[4:5], 0
.LBB23_518:
	s_mov_b64 s[10:11], 0
.LBB23_519:
	s_and_b64 vcc, exec, s[10:11]
	s_cbranch_vccz .LBB23_522
; %bb.520:
	s_cmp_lg_u32 s15, 11
	s_cselect_b64 s[10:11], -1, 0
	s_andn2_b64 s[4:5], s[4:5], exec
	s_and_b64 s[10:11], s[10:11], exec
	s_mov_b64 s[8:9], -1
	s_or_b64 s[4:5], s[4:5], s[10:11]
	s_branch .LBB23_522
.LBB23_521:
	s_mov_b64 s[8:9], 0
.LBB23_522:
	s_and_b64 s[10:11], s[6:7], exec
	s_and_b64 s[6:7], s[8:9], exec
	s_andn2_b64 s[8:9], s[72:73], exec
	s_and_b64 s[4:5], s[4:5], exec
	s_or_b64 s[8:9], s[8:9], s[4:5]
.LBB23_523:
	s_or_b64 exec, exec, s[74:75]
	s_and_b64 s[4:5], s[6:7], exec
	s_andn2_b64 s[6:7], s[72:73], exec
	s_and_b64 s[8:9], s[8:9], exec
	s_and_b64 s[10:11], s[10:11], exec
	s_or_b64 s[72:73], s[6:7], s[8:9]
.LBB23_524:
	s_or_b64 exec, exec, s[70:71]
	s_and_b64 s[6:7], s[10:11], exec
	s_andn2_b64 s[8:9], s[66:67], exec
	s_and_b64 s[10:11], s[72:73], exec
	s_and_b64 s[4:5], s[4:5], exec
	s_or_b64 s[66:67], s[8:9], s[10:11]
.LBB23_525:
	s_or_b64 exec, exec, s[68:69]
	s_and_b64 s[68:69], s[4:5], exec
	s_andn2_b64 s[4:5], s[62:63], exec
	s_and_b64 s[8:9], s[66:67], exec
	s_and_b64 s[6:7], s[6:7], exec
	s_or_b64 s[62:63], s[4:5], s[8:9]
	s_or_b64 exec, exec, s[64:65]
	s_mov_b64 s[4:5], 0
	s_and_saveexec_b64 s[8:9], s[62:63]
	s_cbranch_execz .LBB23_146
.LBB23_526:
	s_mov_b64 s[4:5], exec
	s_andn2_b64 s[68:69], s[68:69], exec
	s_trap 2
	s_or_b64 exec, exec, s[8:9]
	s_and_saveexec_b64 s[8:9], s[68:69]
	s_xor_b64 s[8:9], exec, s[8:9]
	s_cbranch_execnz .LBB23_147
.LBB23_527:
	s_or_b64 exec, exec, s[8:9]
	s_and_saveexec_b64 s[8:9], s[6:7]
	s_xor_b64 s[6:7], exec, s[8:9]
	s_cbranch_execz .LBB23_565
.LBB23_528:
	s_sext_i32_i16 s10, s14
	s_cmp_lt_i32 s10, 5
	s_mov_b64 s[8:9], -1
	s_cbranch_scc1 .LBB23_549
; %bb.529:
	s_cmp_lt_i32 s10, 8
	s_cbranch_scc1 .LBB23_539
; %bb.530:
	s_cmp_lt_i32 s10, 9
	s_cbranch_scc1 .LBB23_536
; %bb.531:
	s_cmp_gt_i32 s10, 9
	s_cbranch_scc0 .LBB23_533
; %bb.532:
	v_cvt_f64_f32_e32 v[4:5], v0
	v_mov_b32_e32 v6, 0
	v_mov_b32_e32 v7, v6
	s_mov_b64 s[8:9], 0
	global_store_dwordx4 v[2:3], v[4:7], off
.LBB23_533:
	s_andn2_b64 vcc, exec, s[8:9]
	s_cbranch_vccnz .LBB23_535
; %bb.534:
	v_mov_b32_e32 v1, 0
	global_store_dwordx2 v[2:3], v[0:1], off
.LBB23_535:
	s_mov_b64 s[8:9], 0
.LBB23_536:
	s_andn2_b64 vcc, exec, s[8:9]
	s_cbranch_vccnz .LBB23_538
; %bb.537:
	v_cvt_f16_f32_e32 v1, v0
	global_store_dword v[2:3], v1, off
.LBB23_538:
	s_mov_b64 s[8:9], 0
.LBB23_539:
	s_andn2_b64 vcc, exec, s[8:9]
	s_cbranch_vccnz .LBB23_548
; %bb.540:
	s_sext_i32_i16 s10, s14
	s_cmp_lt_i32 s10, 6
	s_mov_b64 s[8:9], -1
	s_cbranch_scc1 .LBB23_546
; %bb.541:
	s_cmp_gt_i32 s10, 6
	s_cbranch_scc0 .LBB23_543
; %bb.542:
	v_cvt_f64_f32_e32 v[4:5], v0
	s_mov_b64 s[8:9], 0
	global_store_dwordx2 v[2:3], v[4:5], off
.LBB23_543:
	s_andn2_b64 vcc, exec, s[8:9]
	s_cbranch_vccnz .LBB23_545
; %bb.544:
	global_store_dword v[2:3], v0, off
.LBB23_545:
	s_mov_b64 s[8:9], 0
.LBB23_546:
	s_andn2_b64 vcc, exec, s[8:9]
	s_cbranch_vccnz .LBB23_548
; %bb.547:
	v_cvt_f16_f32_e32 v1, v0
	global_store_short v[2:3], v1, off
.LBB23_548:
	s_mov_b64 s[8:9], 0
.LBB23_549:
	s_andn2_b64 vcc, exec, s[8:9]
	s_cbranch_vccnz .LBB23_565
; %bb.550:
	s_sext_i32_i16 s10, s14
	s_cmp_lt_i32 s10, 2
	s_mov_b64 s[8:9], -1
	s_cbranch_scc1 .LBB23_560
; %bb.551:
	s_cmp_lt_i32 s10, 3
	s_cbranch_scc1 .LBB23_557
; %bb.552:
	s_cmp_gt_i32 s10, 3
	s_cbranch_scc0 .LBB23_554
; %bb.553:
	v_trunc_f32_e32 v1, v0
	s_mov_b32 s8, 0x2f800000
	v_mul_f32_e64 v4, |v1|, s8
	v_floor_f32_e32 v4, v4
	s_mov_b32 s8, 0xcf800000
	v_cvt_u32_f32_e32 v5, v4
	v_fma_f32 v4, v4, s8, |v1|
	v_cvt_u32_f32_e32 v4, v4
	v_ashrrev_i32_e32 v1, 31, v1
	v_xor_b32_e32 v5, v5, v1
	s_mov_b64 s[8:9], 0
	v_xor_b32_e32 v4, v4, v1
	v_sub_co_u32_e32 v4, vcc, v4, v1
	v_subb_co_u32_e32 v5, vcc, v5, v1, vcc
	global_store_dwordx2 v[2:3], v[4:5], off
.LBB23_554:
	s_andn2_b64 vcc, exec, s[8:9]
	s_cbranch_vccnz .LBB23_556
; %bb.555:
	v_cvt_i32_f32_e32 v1, v0
	global_store_dword v[2:3], v1, off
.LBB23_556:
	s_mov_b64 s[8:9], 0
.LBB23_557:
	s_andn2_b64 vcc, exec, s[8:9]
	s_cbranch_vccnz .LBB23_559
; %bb.558:
	v_cvt_i32_f32_e32 v1, v0
	global_store_short v[2:3], v1, off
.LBB23_559:
	s_mov_b64 s[8:9], 0
.LBB23_560:
	s_andn2_b64 vcc, exec, s[8:9]
	s_cbranch_vccnz .LBB23_565
; %bb.561:
	s_sext_i32_i16 s8, s14
	s_cmp_gt_i32 s8, 0
	s_mov_b64 s[8:9], -1
	s_cbranch_scc0 .LBB23_563
; %bb.562:
	v_cvt_i32_f32_e32 v1, v0
	s_mov_b64 s[8:9], 0
	global_store_byte v[2:3], v1, off
.LBB23_563:
	s_andn2_b64 vcc, exec, s[8:9]
	s_cbranch_vccnz .LBB23_565
; %bb.564:
	v_trunc_f32_e32 v0, v0
	s_mov_b32 s8, 0x2f800000
	v_mul_f32_e64 v1, |v0|, s8
	v_floor_f32_e32 v1, v1
	s_mov_b32 s8, 0xcf800000
	v_fma_f32 v1, v1, s8, |v0|
	v_cvt_u32_f32_e32 v1, v1
	v_ashrrev_i32_e32 v0, 31, v0
	v_xor_b32_e32 v1, v1, v0
	v_sub_u32_e32 v0, v1, v0
	global_store_byte v[2:3], v0, off
.LBB23_565:
	s_or_b64 exec, exec, s[6:7]
	s_waitcnt lgkmcnt(0)
	s_and_b64 s[40:41], s[4:5], exec
                                        ; implicit-def: $vgpr1
                                        ; implicit-def: $vgpr23
.LBB23_566:
	s_or_saveexec_b64 s[42:43], s[52:53]
	s_mov_b64 s[4:5], 0
                                        ; implicit-def: $sgpr16
                                        ; implicit-def: $vgpr2_vgpr3
                                        ; implicit-def: $vgpr0
	s_xor_b64 exec, exec, s[42:43]
	s_cbranch_execz .LBB23_1055
; %bb.567:
	v_cndmask_b32_e64 v0, 0, 1, s[50:51]
	v_cmp_ne_u32_e64 s[4:5], 1, v0
	s_andn2_b64 vcc, exec, s[50:51]
	s_cbranch_vccnz .LBB23_573
; %bb.568:
	s_cmp_lg_u32 s33, 0
	s_mov_b32 s36, 0
	s_cbranch_scc0 .LBB23_574
; %bb.569:
	s_min_u32 s37, s76, 15
	s_add_i32 s37, s37, 1
	s_cmp_eq_u32 s76, 2
	s_cbranch_scc1 .LBB23_575
; %bb.570:
	s_and_b32 s36, s37, 28
	s_add_u32 s6, s34, 0xc4
	s_addc_u32 s7, s35, 0
	v_mov_b32_e32 v2, 0
	s_mov_b32 s38, 0
	s_mov_b64 s[30:31], s[34:35]
	v_mov_b32_e32 v32, 0
	v_mov_b32_e32 v0, v23
.LBB23_571:                             ; =>This Inner Loop Header: Depth=1
	s_load_dwordx8 s[16:23], s[30:31], 0x4
	s_load_dwordx4 s[24:27], s[30:31], 0x24
	s_load_dwordx8 s[8:15], s[6:7], 0x0
	s_add_u32 s30, s30, 48
	s_addc_u32 s31, s31, 0
	s_waitcnt lgkmcnt(0)
	v_mul_hi_u32 v3, s17, v0
	s_add_i32 s38, s38, 4
	s_add_u32 s6, s6, 32
	s_addc_u32 s7, s7, 0
	v_add_u32_e32 v3, v0, v3
	v_lshrrev_b32_e32 v3, s18, v3
	v_mul_lo_u32 v4, v3, s16
	v_mul_hi_u32 v5, s20, v3
	s_cmp_lg_u32 s36, s38
	v_sub_u32_e32 v0, v0, v4
	v_add_u32_e32 v4, v3, v5
	v_mul_lo_u32 v5, v0, s8
	v_mul_lo_u32 v6, v0, s9
	v_lshrrev_b32_e32 v0, s21, v4
	v_mul_lo_u32 v4, v0, s19
	v_mul_hi_u32 v7, s23, v0
	v_sub_u32_e32 v3, v3, v4
	v_add_u32_e32 v4, v0, v7
	v_lshrrev_b32_e32 v4, s24, v4
	v_mul_hi_u32 v8, s26, v4
	v_mul_lo_u32 v9, v4, s22
	v_mul_lo_u32 v7, v3, s10
	v_mul_lo_u32 v3, v3, s11
	v_sub_u32_e32 v9, v0, v9
	v_add_u32_e32 v0, v4, v8
	v_lshrrev_b32_e32 v0, s27, v0
	v_mul_lo_u32 v8, v0, s25
	v_mul_lo_u32 v10, v9, s12
	;; [unrolled: 1-line block ×3, first 2 shown]
	v_add3_u32 v5, v5, v32, v7
	v_sub_u32_e32 v4, v4, v8
	v_mul_lo_u32 v8, v4, s14
	v_mul_lo_u32 v4, v4, s15
	v_add3_u32 v2, v6, v2, v3
	v_add3_u32 v32, v10, v5, v8
	;; [unrolled: 1-line block ×3, first 2 shown]
	s_cbranch_scc1 .LBB23_571
; %bb.572:
	s_and_b32 s10, s37, 3
	s_cmp_eq_u32 s10, 0
	s_cbranch_scc0 .LBB23_576
	s_branch .LBB23_578
.LBB23_573:
                                        ; implicit-def: $vgpr32
                                        ; implicit-def: $vgpr2
	s_branch .LBB23_579
.LBB23_574:
	v_mov_b32_e32 v32, 0
	v_mov_b32_e32 v2, 0
	s_branch .LBB23_578
.LBB23_575:
	v_mov_b32_e32 v32, 0
	v_mov_b32_e32 v2, 0
	;; [unrolled: 1-line block ×3, first 2 shown]
	s_and_b32 s10, s37, 3
	s_cmp_eq_u32 s10, 0
	s_cbranch_scc1 .LBB23_578
.LBB23_576:
	s_lshl_b32 s6, s36, 3
	s_add_u32 s6, s34, s6
	s_addc_u32 s7, s35, 0
	s_add_u32 s6, s6, 0xc4
	s_addc_u32 s7, s7, 0
	s_mul_i32 s8, s36, 12
	s_add_u32 s8, s34, s8
	s_addc_u32 s9, s35, 0
.LBB23_577:                             ; =>This Inner Loop Header: Depth=1
	s_load_dwordx2 s[12:13], s[8:9], 0x4
	s_load_dword s11, s[8:9], 0xc
	s_load_dwordx2 s[14:15], s[6:7], 0x0
	s_add_u32 s8, s8, 12
	s_addc_u32 s9, s9, 0
	s_waitcnt lgkmcnt(0)
	v_mul_hi_u32 v3, s13, v0
	s_add_u32 s6, s6, 8
	s_addc_u32 s7, s7, 0
	s_add_i32 s10, s10, -1
	v_add_u32_e32 v3, v0, v3
	v_lshrrev_b32_e32 v4, s11, v3
	v_mul_lo_u32 v3, v4, s12
	s_cmp_lg_u32 s10, 0
	v_sub_u32_e32 v0, v0, v3
	v_mad_u64_u32 v[32:33], s[12:13], v0, s14, v[32:33]
	v_mad_u64_u32 v[2:3], s[12:13], v0, s15, v[2:3]
	v_mov_b32_e32 v0, v4
	s_cbranch_scc1 .LBB23_577
.LBB23_578:
	s_cbranch_execnz .LBB23_581
.LBB23_579:
	s_load_dwordx4 s[8:11], s[34:35], 0x4
	s_load_dwordx2 s[6:7], s[34:35], 0xc4
	s_cmp_lt_u32 s33, 2
	s_waitcnt lgkmcnt(0)
	v_mul_hi_u32 v0, s9, v23
	v_add_u32_e32 v0, v23, v0
	v_lshrrev_b32_e32 v0, s10, v0
	v_mul_lo_u32 v2, v0, s8
	v_sub_u32_e32 v2, v23, v2
	v_mul_lo_u32 v32, v2, s6
	v_mul_lo_u32 v2, v2, s7
	s_cbranch_scc1 .LBB23_581
; %bb.580:
	s_load_dwordx4 s[8:11], s[34:35], 0x10
	s_load_dwordx2 s[6:7], s[34:35], 0xcc
	s_waitcnt lgkmcnt(0)
	v_mul_hi_u32 v3, s9, v0
	v_add_u32_e32 v3, v0, v3
	v_lshrrev_b32_e32 v3, s10, v3
	v_mul_lo_u32 v3, v3, s8
	v_sub_u32_e32 v0, v0, v3
	v_mad_u64_u32 v[32:33], s[8:9], v0, s6, v[32:33]
	v_mad_u64_u32 v[2:3], s[6:7], v0, s7, v[2:3]
.LBB23_581:
	s_and_b64 vcc, exec, s[4:5]
	v_add_u32_e32 v0, 0x80, v23
	s_cbranch_vccnz .LBB23_587
; %bb.582:
	s_cmp_lg_u32 s33, 0
	s_mov_b32 s36, 0
	s_cbranch_scc0 .LBB23_588
; %bb.583:
	s_min_u32 s37, s76, 15
	s_add_i32 s37, s37, 1
	s_cmp_eq_u32 s76, 2
	s_cbranch_scc1 .LBB23_589
; %bb.584:
	s_and_b32 s36, s37, 28
	s_add_u32 s6, s34, 0xc4
	s_addc_u32 s7, s35, 0
	v_mov_b32_e32 v20, 0
	s_mov_b32 s38, 0
	s_mov_b64 s[30:31], s[34:35]
	v_mov_b32_e32 v30, 0
	v_mov_b32_e32 v3, v0
.LBB23_585:                             ; =>This Inner Loop Header: Depth=1
	s_load_dwordx8 s[16:23], s[30:31], 0x4
	s_load_dwordx4 s[24:27], s[30:31], 0x24
	s_load_dwordx8 s[8:15], s[6:7], 0x0
	s_add_u32 s30, s30, 48
	s_addc_u32 s31, s31, 0
	s_waitcnt lgkmcnt(0)
	v_mul_hi_u32 v4, s17, v3
	s_add_i32 s38, s38, 4
	s_add_u32 s6, s6, 32
	s_addc_u32 s7, s7, 0
	v_add_u32_e32 v4, v3, v4
	v_lshrrev_b32_e32 v4, s18, v4
	v_mul_lo_u32 v5, v4, s16
	v_mul_hi_u32 v6, s20, v4
	s_cmp_lg_u32 s36, s38
	v_sub_u32_e32 v3, v3, v5
	v_add_u32_e32 v5, v4, v6
	v_mul_lo_u32 v6, v3, s8
	v_mul_lo_u32 v7, v3, s9
	v_lshrrev_b32_e32 v3, s21, v5
	v_mul_lo_u32 v5, v3, s19
	v_mul_hi_u32 v8, s23, v3
	v_sub_u32_e32 v4, v4, v5
	v_add_u32_e32 v5, v3, v8
	v_lshrrev_b32_e32 v5, s24, v5
	v_mul_hi_u32 v9, s26, v5
	v_mul_lo_u32 v10, v5, s22
	v_mul_lo_u32 v8, v4, s10
	;; [unrolled: 1-line block ×3, first 2 shown]
	v_sub_u32_e32 v10, v3, v10
	v_add_u32_e32 v3, v5, v9
	v_lshrrev_b32_e32 v3, s27, v3
	v_mul_lo_u32 v9, v3, s25
	v_mul_lo_u32 v11, v10, s12
	v_mul_lo_u32 v10, v10, s13
	v_add3_u32 v6, v6, v30, v8
	v_sub_u32_e32 v5, v5, v9
	v_mul_lo_u32 v9, v5, s14
	v_mul_lo_u32 v5, v5, s15
	v_add3_u32 v4, v7, v20, v4
	v_add3_u32 v30, v11, v6, v9
	;; [unrolled: 1-line block ×3, first 2 shown]
	s_cbranch_scc1 .LBB23_585
; %bb.586:
	s_and_b32 s10, s37, 3
	s_cmp_eq_u32 s10, 0
	s_cbranch_scc0 .LBB23_590
	s_branch .LBB23_592
.LBB23_587:
                                        ; implicit-def: $vgpr30
                                        ; implicit-def: $vgpr20
	s_branch .LBB23_593
.LBB23_588:
	v_mov_b32_e32 v30, 0
	v_mov_b32_e32 v20, 0
	s_branch .LBB23_592
.LBB23_589:
	v_mov_b32_e32 v30, 0
	v_mov_b32_e32 v20, 0
	;; [unrolled: 1-line block ×3, first 2 shown]
	s_and_b32 s10, s37, 3
	s_cmp_eq_u32 s10, 0
	s_cbranch_scc1 .LBB23_592
.LBB23_590:
	s_lshl_b32 s6, s36, 3
	s_add_u32 s6, s34, s6
	s_addc_u32 s7, s35, 0
	s_add_u32 s6, s6, 0xc4
	s_addc_u32 s7, s7, 0
	s_mul_i32 s8, s36, 12
	s_add_u32 s8, s34, s8
	s_addc_u32 s9, s35, 0
.LBB23_591:                             ; =>This Inner Loop Header: Depth=1
	s_load_dwordx2 s[12:13], s[8:9], 0x4
	s_load_dword s11, s[8:9], 0xc
	s_load_dwordx2 s[14:15], s[6:7], 0x0
	s_add_u32 s8, s8, 12
	s_addc_u32 s9, s9, 0
	s_waitcnt lgkmcnt(0)
	v_mul_hi_u32 v4, s13, v3
	s_add_u32 s6, s6, 8
	s_addc_u32 s7, s7, 0
	s_add_i32 s10, s10, -1
	v_add_u32_e32 v4, v3, v4
	v_lshrrev_b32_e32 v4, s11, v4
	v_mul_lo_u32 v5, v4, s12
	s_cmp_lg_u32 s10, 0
	v_sub_u32_e32 v3, v3, v5
	v_mad_u64_u32 v[30:31], s[12:13], v3, s14, v[30:31]
	v_mad_u64_u32 v[20:21], s[12:13], v3, s15, v[20:21]
	v_mov_b32_e32 v3, v4
	s_cbranch_scc1 .LBB23_591
.LBB23_592:
	s_cbranch_execnz .LBB23_595
.LBB23_593:
	s_load_dwordx4 s[8:11], s[34:35], 0x4
	s_load_dwordx2 s[6:7], s[34:35], 0xc4
	s_cmp_lt_u32 s33, 2
	s_waitcnt lgkmcnt(0)
	v_mul_hi_u32 v3, s9, v0
	v_add_u32_e32 v3, v0, v3
	v_lshrrev_b32_e32 v3, s10, v3
	v_mul_lo_u32 v4, v3, s8
	v_sub_u32_e32 v0, v0, v4
	v_mul_lo_u32 v30, v0, s6
	v_mul_lo_u32 v20, v0, s7
	s_cbranch_scc1 .LBB23_595
; %bb.594:
	s_load_dwordx4 s[8:11], s[34:35], 0x10
	s_load_dwordx2 s[6:7], s[34:35], 0xcc
	s_waitcnt lgkmcnt(0)
	v_mul_hi_u32 v0, s9, v3
	v_add_u32_e32 v0, v3, v0
	v_lshrrev_b32_e32 v0, s10, v0
	v_mul_lo_u32 v0, v0, s8
	v_sub_u32_e32 v0, v3, v0
	v_mad_u64_u32 v[30:31], s[8:9], v0, s6, v[30:31]
	v_mad_u64_u32 v[20:21], s[6:7], v0, s7, v[20:21]
.LBB23_595:
	s_and_b64 vcc, exec, s[4:5]
	v_add_u32_e32 v0, 0x100, v23
	s_cbranch_vccnz .LBB23_601
; %bb.596:
	s_cmp_lg_u32 s33, 0
	s_mov_b32 s36, 0
	s_cbranch_scc0 .LBB23_602
; %bb.597:
	s_min_u32 s37, s76, 15
	s_add_i32 s37, s37, 1
	s_cmp_eq_u32 s76, 2
	s_cbranch_scc1 .LBB23_603
; %bb.598:
	s_and_b32 s36, s37, 28
	s_add_u32 s6, s34, 0xc4
	s_addc_u32 s7, s35, 0
	v_mov_b32_e32 v23, 0
	s_mov_b32 s38, 0
	s_mov_b64 s[30:31], s[34:35]
	v_mov_b32_e32 v28, 0
	v_mov_b32_e32 v3, v0
.LBB23_599:                             ; =>This Inner Loop Header: Depth=1
	s_load_dwordx8 s[16:23], s[30:31], 0x4
	s_load_dwordx4 s[24:27], s[30:31], 0x24
	s_load_dwordx8 s[8:15], s[6:7], 0x0
	s_add_u32 s30, s30, 48
	s_addc_u32 s31, s31, 0
	s_waitcnt lgkmcnt(0)
	v_mul_hi_u32 v4, s17, v3
	s_add_i32 s38, s38, 4
	s_add_u32 s6, s6, 32
	s_addc_u32 s7, s7, 0
	v_add_u32_e32 v4, v3, v4
	v_lshrrev_b32_e32 v4, s18, v4
	v_mul_lo_u32 v5, v4, s16
	v_mul_hi_u32 v6, s20, v4
	s_cmp_lg_u32 s36, s38
	v_sub_u32_e32 v3, v3, v5
	v_add_u32_e32 v5, v4, v6
	v_mul_lo_u32 v6, v3, s8
	v_mul_lo_u32 v7, v3, s9
	v_lshrrev_b32_e32 v3, s21, v5
	v_mul_lo_u32 v5, v3, s19
	v_mul_hi_u32 v8, s23, v3
	v_sub_u32_e32 v4, v4, v5
	v_add_u32_e32 v5, v3, v8
	v_lshrrev_b32_e32 v5, s24, v5
	v_mul_hi_u32 v9, s26, v5
	v_mul_lo_u32 v10, v5, s22
	v_mul_lo_u32 v8, v4, s10
	;; [unrolled: 1-line block ×3, first 2 shown]
	v_sub_u32_e32 v10, v3, v10
	v_add_u32_e32 v3, v5, v9
	v_lshrrev_b32_e32 v3, s27, v3
	v_mul_lo_u32 v9, v3, s25
	v_mul_lo_u32 v11, v10, s12
	;; [unrolled: 1-line block ×3, first 2 shown]
	v_add3_u32 v6, v6, v28, v8
	v_sub_u32_e32 v5, v5, v9
	v_mul_lo_u32 v9, v5, s14
	v_mul_lo_u32 v5, v5, s15
	v_add3_u32 v4, v7, v23, v4
	v_add3_u32 v28, v11, v6, v9
	;; [unrolled: 1-line block ×3, first 2 shown]
	s_cbranch_scc1 .LBB23_599
; %bb.600:
	s_and_b32 s10, s37, 3
	s_cmp_eq_u32 s10, 0
	s_cbranch_scc0 .LBB23_604
	s_branch .LBB23_606
.LBB23_601:
                                        ; implicit-def: $vgpr28
                                        ; implicit-def: $vgpr23
	s_branch .LBB23_607
.LBB23_602:
	v_mov_b32_e32 v28, 0
	v_mov_b32_e32 v23, 0
	s_branch .LBB23_606
.LBB23_603:
	v_mov_b32_e32 v28, 0
	v_mov_b32_e32 v23, 0
	v_mov_b32_e32 v3, v0
	s_and_b32 s10, s37, 3
	s_cmp_eq_u32 s10, 0
	s_cbranch_scc1 .LBB23_606
.LBB23_604:
	s_lshl_b32 s6, s36, 3
	s_add_u32 s6, s34, s6
	s_addc_u32 s7, s35, 0
	s_add_u32 s6, s6, 0xc4
	s_addc_u32 s7, s7, 0
	s_mul_i32 s8, s36, 12
	s_add_u32 s8, s34, s8
	s_addc_u32 s9, s35, 0
.LBB23_605:                             ; =>This Inner Loop Header: Depth=1
	s_load_dwordx2 s[12:13], s[8:9], 0x4
	s_load_dword s11, s[8:9], 0xc
	s_load_dwordx2 s[14:15], s[6:7], 0x0
	s_add_u32 s8, s8, 12
	s_addc_u32 s9, s9, 0
	s_waitcnt lgkmcnt(0)
	v_mul_hi_u32 v4, s13, v3
	s_add_u32 s6, s6, 8
	s_addc_u32 s7, s7, 0
	s_add_i32 s10, s10, -1
	v_add_u32_e32 v4, v3, v4
	v_lshrrev_b32_e32 v4, s11, v4
	v_mul_lo_u32 v5, v4, s12
	s_cmp_lg_u32 s10, 0
	v_sub_u32_e32 v3, v3, v5
	v_mad_u64_u32 v[28:29], s[12:13], v3, s14, v[28:29]
	v_mad_u64_u32 v[23:24], s[12:13], v3, s15, v[23:24]
	v_mov_b32_e32 v3, v4
	s_cbranch_scc1 .LBB23_605
.LBB23_606:
	s_cbranch_execnz .LBB23_609
.LBB23_607:
	s_load_dwordx4 s[8:11], s[34:35], 0x4
	s_load_dwordx2 s[6:7], s[34:35], 0xc4
	s_cmp_lt_u32 s33, 2
	s_waitcnt lgkmcnt(0)
	v_mul_hi_u32 v3, s9, v0
	v_add_u32_e32 v3, v0, v3
	v_lshrrev_b32_e32 v3, s10, v3
	v_mul_lo_u32 v4, v3, s8
	v_sub_u32_e32 v0, v0, v4
	v_mul_lo_u32 v28, v0, s6
	v_mul_lo_u32 v23, v0, s7
	s_cbranch_scc1 .LBB23_609
; %bb.608:
	s_load_dwordx4 s[8:11], s[34:35], 0x10
	s_load_dwordx2 s[6:7], s[34:35], 0xcc
	s_waitcnt lgkmcnt(0)
	v_mul_hi_u32 v0, s9, v3
	v_add_u32_e32 v0, v3, v0
	v_lshrrev_b32_e32 v0, s10, v0
	v_mul_lo_u32 v0, v0, s8
	v_sub_u32_e32 v0, v3, v0
	v_mad_u64_u32 v[28:29], s[8:9], v0, s6, v[28:29]
	v_mad_u64_u32 v[23:24], s[6:7], v0, s7, v[23:24]
.LBB23_609:
	s_and_b64 vcc, exec, s[4:5]
	s_cbranch_vccnz .LBB23_615
; %bb.610:
	s_cmp_lg_u32 s33, 0
	s_mov_b32 s30, 0
	s_cbranch_scc0 .LBB23_616
; %bb.611:
	s_min_u32 s31, s76, 15
	s_add_i32 s31, s31, 1
	s_cmp_eq_u32 s76, 2
	s_cbranch_scc1 .LBB23_617
; %bb.612:
	s_and_b32 s30, s31, 28
	s_add_u32 s24, s34, 0xc4
	s_addc_u32 s25, s35, 0
	v_mov_b32_e32 v24, 0
	s_mov_b32 s36, 0
	s_mov_b64 s[26:27], s[34:35]
	v_mov_b32_e32 v26, 0
	v_mov_b32_e32 v0, v1
.LBB23_613:                             ; =>This Inner Loop Header: Depth=1
	s_load_dwordx8 s[12:19], s[26:27], 0x4
	s_load_dwordx4 s[20:23], s[26:27], 0x24
	s_load_dwordx8 s[4:11], s[24:25], 0x0
	s_add_u32 s26, s26, 48
	s_addc_u32 s27, s27, 0
	s_waitcnt lgkmcnt(0)
	v_mul_hi_u32 v3, s13, v0
	s_add_i32 s36, s36, 4
	s_add_u32 s24, s24, 32
	s_addc_u32 s25, s25, 0
	v_add_u32_e32 v3, v0, v3
	v_lshrrev_b32_e32 v3, s14, v3
	v_mul_lo_u32 v4, v3, s12
	v_mul_hi_u32 v5, s16, v3
	s_cmp_lg_u32 s30, s36
	v_sub_u32_e32 v0, v0, v4
	v_add_u32_e32 v4, v3, v5
	v_mul_lo_u32 v5, v0, s4
	v_mul_lo_u32 v6, v0, s5
	v_lshrrev_b32_e32 v0, s17, v4
	v_mul_lo_u32 v4, v0, s15
	v_mul_hi_u32 v7, s19, v0
	v_sub_u32_e32 v3, v3, v4
	v_add_u32_e32 v4, v0, v7
	v_lshrrev_b32_e32 v4, s20, v4
	v_mul_hi_u32 v8, s22, v4
	v_mul_lo_u32 v9, v4, s18
	v_mul_lo_u32 v7, v3, s6
	;; [unrolled: 1-line block ×3, first 2 shown]
	v_sub_u32_e32 v9, v0, v9
	v_add_u32_e32 v0, v4, v8
	v_lshrrev_b32_e32 v0, s23, v0
	v_mul_lo_u32 v8, v0, s21
	v_mul_lo_u32 v10, v9, s8
	;; [unrolled: 1-line block ×3, first 2 shown]
	v_add3_u32 v5, v5, v26, v7
	v_sub_u32_e32 v4, v4, v8
	v_mul_lo_u32 v8, v4, s10
	v_mul_lo_u32 v4, v4, s11
	v_add3_u32 v3, v6, v24, v3
	v_add3_u32 v26, v10, v5, v8
	;; [unrolled: 1-line block ×3, first 2 shown]
	s_cbranch_scc1 .LBB23_613
; %bb.614:
	s_and_b32 s8, s31, 3
	s_cmp_eq_u32 s8, 0
	s_cbranch_scc0 .LBB23_618
	s_branch .LBB23_620
.LBB23_615:
                                        ; implicit-def: $vgpr26
                                        ; implicit-def: $vgpr24
	s_branch .LBB23_621
.LBB23_616:
	v_mov_b32_e32 v26, 0
	v_mov_b32_e32 v24, 0
	s_branch .LBB23_620
.LBB23_617:
	v_mov_b32_e32 v26, 0
	v_mov_b32_e32 v24, 0
	v_mov_b32_e32 v0, v1
	s_and_b32 s8, s31, 3
	s_cmp_eq_u32 s8, 0
	s_cbranch_scc1 .LBB23_620
.LBB23_618:
	s_lshl_b32 s4, s30, 3
	s_add_u32 s4, s34, s4
	s_addc_u32 s5, s35, 0
	s_add_u32 s4, s4, 0xc4
	s_addc_u32 s5, s5, 0
	s_mul_i32 s6, s30, 12
	s_add_u32 s6, s34, s6
	s_addc_u32 s7, s35, 0
.LBB23_619:                             ; =>This Inner Loop Header: Depth=1
	s_load_dwordx2 s[10:11], s[6:7], 0x4
	s_load_dword s9, s[6:7], 0xc
	s_load_dwordx2 s[12:13], s[4:5], 0x0
	s_add_u32 s6, s6, 12
	s_addc_u32 s7, s7, 0
	s_waitcnt lgkmcnt(0)
	v_mul_hi_u32 v3, s11, v0
	s_add_u32 s4, s4, 8
	s_addc_u32 s5, s5, 0
	s_add_i32 s8, s8, -1
	v_add_u32_e32 v3, v0, v3
	v_lshrrev_b32_e32 v3, s9, v3
	v_mul_lo_u32 v4, v3, s10
	s_cmp_lg_u32 s8, 0
	v_sub_u32_e32 v0, v0, v4
	v_mad_u64_u32 v[26:27], s[10:11], v0, s12, v[26:27]
	v_mad_u64_u32 v[24:25], s[10:11], v0, s13, v[24:25]
	v_mov_b32_e32 v0, v3
	s_cbranch_scc1 .LBB23_619
.LBB23_620:
	s_cbranch_execnz .LBB23_623
.LBB23_621:
	s_load_dwordx4 s[4:7], s[34:35], 0x4
	s_load_dwordx2 s[8:9], s[34:35], 0xc4
	s_cmp_lt_u32 s33, 2
	s_waitcnt lgkmcnt(0)
	v_mul_hi_u32 v0, s5, v1
	v_add_u32_e32 v0, v1, v0
	v_lshrrev_b32_e32 v0, s6, v0
	v_mul_lo_u32 v3, v0, s4
	v_sub_u32_e32 v1, v1, v3
	v_mul_lo_u32 v26, v1, s8
	v_mul_lo_u32 v24, v1, s9
	s_cbranch_scc1 .LBB23_623
; %bb.622:
	s_load_dwordx4 s[4:7], s[34:35], 0x10
	s_load_dwordx2 s[8:9], s[34:35], 0xcc
	s_waitcnt lgkmcnt(0)
	v_mul_hi_u32 v1, s5, v0
	v_add_u32_e32 v1, v0, v1
	v_lshrrev_b32_e32 v1, s6, v1
	v_mul_lo_u32 v1, v1, s4
	v_sub_u32_e32 v0, v0, v1
	v_mad_u64_u32 v[26:27], s[4:5], v0, s8, v[26:27]
	v_mad_u64_u32 v[24:25], s[4:5], v0, s9, v[24:25]
.LBB23_623:
	s_load_dword s33, s[28:29], 0x160
	s_load_dwordx4 s[36:39], s[34:35], 0x148
	s_getpc_b64 s[28:29]
	s_add_u32 s28, s28, _ZN2at6native6invokeIZZZNS0_12_GLOBAL__N_121bessel_y0_kernel_cudaERNS_18TensorIteratorBaseEENKUlvE_clEvENKUlvE0_clEvEUlfE_j15function_traitsIS7_EEENT1_11result_typeERKT_PrKPcPKT0_PKN3c1010ScalarTypeEi@rel32@lo+4
	s_addc_u32 s29, s29, _ZN2at6native6invokeIZZZNS0_12_GLOBAL__N_121bessel_y0_kernel_cudaERNS_18TensorIteratorBaseEENKUlvE_clEvENKUlvE0_clEvEUlfE_j15function_traitsIS7_EEENT1_11result_typeERKT_PrKPcPKT0_PKN3c1010ScalarTypeEi@rel32@hi+12
	s_waitcnt lgkmcnt(0)
	s_lshr_b32 s34, s33, 16
	v_mov_b32_e32 v0, s38
	v_mov_b32_e32 v1, s39
	v_mov_b32_e32 v3, s34
	s_swappc_b64 s[30:31], s[28:29]
	v_mov_b32_e32 v22, v0
	v_mov_b32_e32 v0, s38
	v_mov_b32_e32 v1, s39
	v_mov_b32_e32 v2, v20
	v_mov_b32_e32 v3, s34
	s_swappc_b64 s[30:31], s[28:29]
	v_mov_b32_e32 v21, v0
	v_mov_b32_e32 v0, s38
	;; [unrolled: 6-line block ×3, first 2 shown]
	v_mov_b32_e32 v1, s39
	v_mov_b32_e32 v2, v24
	;; [unrolled: 1-line block ×3, first 2 shown]
	s_swappc_b64 s[30:31], s[28:29]
	v_mov_b32_e32 v2, s37
	s_bfe_u32 s14, s33, 0x80008
	v_add_co_u32_e32 v1, vcc, s36, v32
	s_cmp_lt_i32 s14, 11
	v_addc_co_u32_e32 v2, vcc, 0, v2, vcc
	s_cbranch_scc1 .LBB23_702
; %bb.624:
	s_and_b32 s15, 0xffff, s14
	s_mov_b64 s[6:7], -1
	s_mov_b64 s[8:9], 0
	s_cmp_gt_i32 s15, 25
	s_mov_b64 s[10:11], 0
	s_mov_b64 s[4:5], 0
	s_cbranch_scc0 .LBB23_657
; %bb.625:
	s_cmp_gt_i32 s15, 28
	s_cbranch_scc0 .LBB23_640
; %bb.626:
	s_cmp_gt_i32 s15, 43
	;; [unrolled: 3-line block ×3, first 2 shown]
	s_cbranch_scc0 .LBB23_630
; %bb.628:
	s_mov_b64 s[4:5], -1
	s_mov_b64 s[6:7], 0
	s_cmp_eq_u32 s15, 46
	s_cbranch_scc0 .LBB23_630
; %bb.629:
	v_bfe_u32 v3, v22, 16, 1
	s_movk_i32 s4, 0x7fff
	v_add3_u32 v3, v22, v3, s4
	v_cmp_o_f32_e32 vcc, v22, v22
	v_mov_b32_e32 v4, 0x7fc0
	v_cndmask_b32_sdwa v3, v4, v3, vcc dst_sel:DWORD dst_unused:UNUSED_PAD src0_sel:DWORD src1_sel:WORD_1
	global_store_dword v[1:2], v3, off
	s_mov_b64 s[4:5], 0
	s_mov_b64 s[10:11], -1
.LBB23_630:
	s_and_b64 vcc, exec, s[6:7]
	s_cbranch_vccz .LBB23_635
; %bb.631:
	s_cmp_eq_u32 s15, 44
	s_mov_b64 s[4:5], -1
	s_cbranch_scc0 .LBB23_635
; %bb.632:
	v_bfe_u32 v3, v22, 23, 8
	s_movk_i32 s4, 0xff
	v_cmp_ne_u32_e32 vcc, s4, v3
	v_mov_b32_e32 v4, 0xff
	s_and_saveexec_b64 s[6:7], vcc
; %bb.633:
	s_mov_b32 s4, 0x3fffff
	v_and_b32_e32 v5, 0x400000, v22
	v_and_or_b32 v3, v22, s4, v3
	v_cmp_ne_u32_e32 vcc, 0, v5
	v_cmp_ne_u32_e64 s[4:5], 0, v3
	s_and_b64 s[4:5], vcc, s[4:5]
	v_lshrrev_b32_e32 v4, 23, v22
	v_cndmask_b32_e64 v3, 0, 1, s[4:5]
	v_add_u32_e32 v4, v4, v3
; %bb.634:
	s_or_b64 exec, exec, s[6:7]
	s_mov_b64 s[4:5], 0
	s_mov_b64 s[10:11], -1
	global_store_byte v[1:2], v4, off
.LBB23_635:
	s_mov_b64 s[6:7], 0
.LBB23_636:
	s_and_b64 vcc, exec, s[6:7]
	s_cbranch_vccz .LBB23_639
; %bb.637:
	s_cmp_eq_u32 s15, 29
	s_mov_b64 s[4:5], -1
	s_cbranch_scc0 .LBB23_639
; %bb.638:
	v_trunc_f32_e32 v3, v22
	v_mul_f32_e32 v4, 0x2f800000, v3
	v_floor_f32_e32 v5, v4
	v_fmac_f32_e32 v3, 0xcf800000, v5
	v_cvt_u32_f32_e32 v4, v5
	v_cvt_u32_f32_e32 v3, v3
	s_mov_b64 s[4:5], 0
	s_mov_b64 s[10:11], -1
	global_store_dwordx2 v[1:2], v[3:4], off
.LBB23_639:
	s_mov_b64 s[6:7], 0
.LBB23_640:
	s_and_b64 vcc, exec, s[6:7]
	s_cbranch_vccz .LBB23_656
; %bb.641:
	s_cmp_lt_i32 s15, 27
	s_mov_b64 s[6:7], -1
	s_cbranch_scc1 .LBB23_647
; %bb.642:
	s_cmp_gt_i32 s15, 27
	s_cbranch_scc0 .LBB23_644
; %bb.643:
	v_cvt_u32_f32_e32 v3, v22
	s_mov_b64 s[6:7], 0
	global_store_dword v[1:2], v3, off
.LBB23_644:
	s_andn2_b64 vcc, exec, s[6:7]
	s_cbranch_vccnz .LBB23_646
; %bb.645:
	v_cvt_u32_f32_e32 v3, v22
	global_store_short v[1:2], v3, off
.LBB23_646:
	s_mov_b64 s[6:7], 0
.LBB23_647:
	s_andn2_b64 vcc, exec, s[6:7]
	s_cbranch_vccnz .LBB23_655
; %bb.648:
	v_and_b32_e32 v3, 0x7fffffff, v22
	s_mov_b32 s6, 0x43800000
	v_cmp_gt_u32_e32 vcc, s6, v3
	v_mov_b32_e32 v4, 0x80
	s_and_saveexec_b64 s[6:7], vcc
	s_cbranch_execz .LBB23_654
; %bb.649:
	s_mov_b32 s10, 0x3bffffff
	v_cmp_lt_u32_e32 vcc, s10, v3
	s_mov_b64 s[10:11], 0
                                        ; implicit-def: $vgpr3
	s_and_saveexec_b64 s[12:13], vcc
	s_xor_b64 s[12:13], exec, s[12:13]
	s_cbranch_execz .LBB23_1099
; %bb.650:
	v_bfe_u32 v3, v22, 20, 1
	s_mov_b32 s16, 0x487ffff
	v_add3_u32 v3, v22, v3, s16
	s_mov_b64 s[10:11], exec
	v_lshrrev_b32_e32 v3, 20, v3
	s_andn2_saveexec_b64 s[12:13], s[12:13]
	s_cbranch_execnz .LBB23_1100
.LBB23_651:
	s_or_b64 exec, exec, s[12:13]
	v_mov_b32_e32 v4, 0
	s_and_saveexec_b64 s[12:13], s[10:11]
.LBB23_652:
	v_lshrrev_b32_e32 v4, 24, v22
	s_movk_i32 s10, 0x80
	v_and_or_b32 v4, v4, s10, v3
.LBB23_653:
	s_or_b64 exec, exec, s[12:13]
.LBB23_654:
	s_or_b64 exec, exec, s[6:7]
	global_store_byte v[1:2], v4, off
.LBB23_655:
	s_mov_b64 s[10:11], -1
.LBB23_656:
	s_mov_b64 s[6:7], 0
.LBB23_657:
	s_and_b64 vcc, exec, s[6:7]
	s_cbranch_vccz .LBB23_697
; %bb.658:
	s_cmp_gt_i32 s15, 22
	s_mov_b64 s[6:7], -1
	s_cbranch_scc0 .LBB23_690
; %bb.659:
	s_cmp_lt_i32 s15, 24
	s_cbranch_scc1 .LBB23_679
; %bb.660:
	s_cmp_gt_i32 s15, 24
	s_cbranch_scc0 .LBB23_668
; %bb.661:
	v_and_b32_e32 v3, 0x7fffffff, v22
	s_mov_b32 s6, 0x47800000
	v_cmp_gt_u32_e32 vcc, s6, v3
	v_mov_b32_e32 v4, 0x80
	s_and_saveexec_b64 s[6:7], vcc
	s_cbranch_execz .LBB23_667
; %bb.662:
	s_mov_b32 s8, 0x37ffffff
	v_cmp_lt_u32_e32 vcc, s8, v3
	s_mov_b64 s[8:9], 0
                                        ; implicit-def: $vgpr3
	s_and_saveexec_b64 s[10:11], vcc
	s_xor_b64 s[10:11], exec, s[10:11]
	s_cbranch_execz .LBB23_1102
; %bb.663:
	v_bfe_u32 v3, v22, 21, 1
	s_mov_b32 s12, 0x88fffff
	v_add3_u32 v3, v22, v3, s12
	s_mov_b64 s[8:9], exec
	v_lshrrev_b32_e32 v3, 21, v3
	s_andn2_saveexec_b64 s[10:11], s[10:11]
	s_cbranch_execnz .LBB23_1103
.LBB23_664:
	s_or_b64 exec, exec, s[10:11]
	v_mov_b32_e32 v4, 0
	s_and_saveexec_b64 s[10:11], s[8:9]
.LBB23_665:
	v_lshrrev_b32_e32 v4, 24, v22
	s_movk_i32 s8, 0x80
	v_and_or_b32 v4, v4, s8, v3
.LBB23_666:
	s_or_b64 exec, exec, s[10:11]
.LBB23_667:
	s_or_b64 exec, exec, s[6:7]
	s_mov_b64 s[6:7], 0
	global_store_byte v[1:2], v4, off
.LBB23_668:
	s_and_b64 vcc, exec, s[6:7]
	s_cbranch_vccz .LBB23_678
; %bb.669:
	v_and_b32_e32 v4, 0x7fffffff, v22
	s_mov_b32 s6, 0x43f00000
	v_cmp_gt_u32_e32 vcc, s6, v4
                                        ; implicit-def: $vgpr3
	s_and_saveexec_b64 s[6:7], vcc
	s_xor_b64 s[6:7], exec, s[6:7]
	s_cbranch_execz .LBB23_675
; %bb.670:
	s_mov_b32 s8, 0x3c7fffff
	v_cmp_lt_u32_e32 vcc, s8, v4
                                        ; implicit-def: $vgpr3
	s_and_saveexec_b64 s[8:9], vcc
	s_xor_b64 s[8:9], exec, s[8:9]
; %bb.671:
	v_bfe_u32 v3, v22, 20, 1
	s_mov_b32 s10, 0x407ffff
	v_add3_u32 v3, v22, v3, s10
	v_lshrrev_b32_e32 v4, 20, v3
	v_and_b32_e32 v3, 0xff00000, v3
	s_mov_b32 s10, 0x7f00000
	v_mov_b32_e32 v5, 0x7e
	v_cmp_ne_u32_e32 vcc, s10, v3
	v_cndmask_b32_e32 v3, v5, v4, vcc
; %bb.672:
	s_andn2_saveexec_b64 s[8:9], s[8:9]
; %bb.673:
	s_mov_b32 s10, 0x46800000
	v_add_f32_e64 v3, |v22|, s10
; %bb.674:
	s_or_b64 exec, exec, s[8:9]
                                        ; implicit-def: $vgpr4
.LBB23_675:
	s_andn2_saveexec_b64 s[6:7], s[6:7]
; %bb.676:
	s_mov_b32 s8, 0x7f800000
	v_mov_b32_e32 v3, 0x7e
	v_mov_b32_e32 v5, 0x7f
	v_cmp_lt_u32_e32 vcc, s8, v4
	v_cndmask_b32_e32 v3, v3, v5, vcc
; %bb.677:
	s_or_b64 exec, exec, s[6:7]
	v_lshrrev_b32_e32 v4, 24, v22
	s_movk_i32 s6, 0x80
	v_and_or_b32 v3, v4, s6, v3
	global_store_byte v[1:2], v3, off
.LBB23_678:
	s_mov_b64 s[6:7], 0
.LBB23_679:
	s_andn2_b64 vcc, exec, s[6:7]
	s_cbranch_vccnz .LBB23_689
; %bb.680:
	v_and_b32_e32 v4, 0x7fffffff, v22
	s_mov_b32 s6, 0x47800000
	v_cmp_gt_u32_e32 vcc, s6, v4
                                        ; implicit-def: $vgpr3
	s_and_saveexec_b64 s[6:7], vcc
	s_xor_b64 s[6:7], exec, s[6:7]
	s_cbranch_execz .LBB23_686
; %bb.681:
	s_mov_b32 s8, 0x387fffff
	v_cmp_lt_u32_e32 vcc, s8, v4
                                        ; implicit-def: $vgpr3
	s_and_saveexec_b64 s[8:9], vcc
	s_xor_b64 s[8:9], exec, s[8:9]
; %bb.682:
	v_bfe_u32 v3, v22, 21, 1
	s_mov_b32 s10, 0x80fffff
	v_add3_u32 v3, v22, v3, s10
	v_lshrrev_b32_e32 v3, 21, v3
; %bb.683:
	s_andn2_saveexec_b64 s[8:9], s[8:9]
; %bb.684:
	s_mov_b32 s10, 0x43000000
	v_add_f32_e64 v3, |v22|, s10
; %bb.685:
	s_or_b64 exec, exec, s[8:9]
                                        ; implicit-def: $vgpr4
.LBB23_686:
	s_andn2_saveexec_b64 s[6:7], s[6:7]
; %bb.687:
	s_mov_b32 s8, 0x7f800000
	v_mov_b32_e32 v3, 0x7c
	v_mov_b32_e32 v5, 0x7f
	v_cmp_lt_u32_e32 vcc, s8, v4
	v_cndmask_b32_e32 v3, v3, v5, vcc
; %bb.688:
	s_or_b64 exec, exec, s[6:7]
	v_lshrrev_b32_e32 v4, 24, v22
	s_movk_i32 s6, 0x80
	v_and_or_b32 v3, v4, s6, v3
	global_store_byte v[1:2], v3, off
.LBB23_689:
	s_mov_b64 s[6:7], 0
	s_mov_b64 s[10:11], -1
.LBB23_690:
	s_andn2_b64 vcc, exec, s[6:7]
	s_mov_b64 s[8:9], 0
	s_cbranch_vccnz .LBB23_697
; %bb.691:
	s_cmp_gt_i32 s15, 14
	s_mov_b64 s[6:7], -1
	s_cbranch_scc0 .LBB23_695
; %bb.692:
	s_cmp_eq_u32 s15, 15
	s_mov_b64 s[4:5], -1
	s_cbranch_scc0 .LBB23_694
; %bb.693:
	v_bfe_u32 v3, v22, 16, 1
	s_movk_i32 s4, 0x7fff
	v_add3_u32 v3, v22, v3, s4
	v_cmp_o_f32_e32 vcc, v22, v22
	v_mov_b32_e32 v4, 0x7fc0
	v_cndmask_b32_sdwa v3, v4, v3, vcc dst_sel:DWORD dst_unused:UNUSED_PAD src0_sel:DWORD src1_sel:WORD_1
	global_store_short v[1:2], v3, off
	s_mov_b64 s[4:5], 0
	s_mov_b64 s[10:11], -1
.LBB23_694:
	s_mov_b64 s[6:7], 0
.LBB23_695:
	s_and_b64 vcc, exec, s[6:7]
	s_cbranch_vccz .LBB23_697
; %bb.696:
	s_cmp_lg_u32 s15, 11
	s_mov_b64 s[8:9], -1
	s_cselect_b64 s[4:5], -1, 0
.LBB23_697:
	s_and_b64 vcc, exec, s[4:5]
	s_mov_b64 s[6:7], s[40:41]
	s_cbranch_vccnz .LBB23_1101
; %bb.698:
	s_andn2_b64 vcc, exec, s[8:9]
	s_cbranch_vccnz .LBB23_700
.LBB23_699:
	v_cmp_neq_f32_e32 vcc, 0, v22
	v_cndmask_b32_e64 v3, 0, 1, vcc
	global_store_byte v[1:2], v3, off
	s_mov_b64 s[10:11], -1
.LBB23_700:
.LBB23_701:
	s_andn2_b64 vcc, exec, s[10:11]
	s_cbranch_vccz .LBB23_741
	s_branch .LBB23_1053
.LBB23_702:
	s_mov_b64 s[10:11], 0
	s_mov_b64 s[6:7], s[40:41]
	s_cbranch_execz .LBB23_701
; %bb.703:
	s_and_b32 s8, 0xffff, s14
	s_cmp_lt_i32 s8, 5
	s_mov_b64 s[4:5], -1
	s_cbranch_scc1 .LBB23_724
; %bb.704:
	s_cmp_lt_i32 s8, 8
	s_cbranch_scc1 .LBB23_714
; %bb.705:
	s_cmp_lt_i32 s8, 9
	s_cbranch_scc1 .LBB23_711
; %bb.706:
	s_cmp_gt_i32 s8, 9
	s_cbranch_scc0 .LBB23_708
; %bb.707:
	v_cvt_f64_f32_e32 v[3:4], v22
	v_mov_b32_e32 v5, 0
	v_mov_b32_e32 v6, v5
	s_mov_b64 s[4:5], 0
	global_store_dwordx4 v[1:2], v[3:6], off
.LBB23_708:
	s_andn2_b64 vcc, exec, s[4:5]
	s_cbranch_vccnz .LBB23_710
; %bb.709:
	v_mov_b32_e32 v23, 0
	global_store_dwordx2 v[1:2], v[22:23], off
.LBB23_710:
	s_mov_b64 s[4:5], 0
.LBB23_711:
	s_andn2_b64 vcc, exec, s[4:5]
	s_cbranch_vccnz .LBB23_713
; %bb.712:
	v_cvt_f16_f32_e32 v3, v22
	global_store_dword v[1:2], v3, off
.LBB23_713:
	s_mov_b64 s[4:5], 0
.LBB23_714:
	s_andn2_b64 vcc, exec, s[4:5]
	s_cbranch_vccnz .LBB23_723
; %bb.715:
	s_cmp_lt_i32 s8, 6
	s_mov_b64 s[4:5], -1
	s_cbranch_scc1 .LBB23_721
; %bb.716:
	s_cmp_gt_i32 s8, 6
	s_cbranch_scc0 .LBB23_718
; %bb.717:
	v_cvt_f64_f32_e32 v[3:4], v22
	s_mov_b64 s[4:5], 0
	global_store_dwordx2 v[1:2], v[3:4], off
.LBB23_718:
	s_andn2_b64 vcc, exec, s[4:5]
	s_cbranch_vccnz .LBB23_720
; %bb.719:
	global_store_dword v[1:2], v22, off
.LBB23_720:
	s_mov_b64 s[4:5], 0
.LBB23_721:
	s_andn2_b64 vcc, exec, s[4:5]
	s_cbranch_vccnz .LBB23_723
; %bb.722:
	v_cvt_f16_f32_e32 v3, v22
	global_store_short v[1:2], v3, off
.LBB23_723:
	s_mov_b64 s[4:5], 0
.LBB23_724:
	s_andn2_b64 vcc, exec, s[4:5]
	s_cbranch_vccnz .LBB23_740
; %bb.725:
	s_cmp_lt_i32 s8, 2
	s_mov_b64 s[4:5], -1
	s_cbranch_scc1 .LBB23_735
; %bb.726:
	s_cmp_lt_i32 s8, 3
	s_cbranch_scc1 .LBB23_732
; %bb.727:
	s_cmp_gt_i32 s8, 3
	s_cbranch_scc0 .LBB23_729
; %bb.728:
	v_trunc_f32_e32 v3, v22
	s_mov_b32 s4, 0x2f800000
	v_mul_f32_e64 v4, |v3|, s4
	v_floor_f32_e32 v4, v4
	s_mov_b32 s4, 0xcf800000
	v_cvt_u32_f32_e32 v5, v4
	v_fma_f32 v4, v4, s4, |v3|
	v_cvt_u32_f32_e32 v4, v4
	v_ashrrev_i32_e32 v6, 31, v3
	v_xor_b32_e32 v5, v5, v6
	s_mov_b64 s[4:5], 0
	v_xor_b32_e32 v3, v4, v6
	v_sub_co_u32_e32 v3, vcc, v3, v6
	v_subb_co_u32_e32 v4, vcc, v5, v6, vcc
	global_store_dwordx2 v[1:2], v[3:4], off
.LBB23_729:
	s_andn2_b64 vcc, exec, s[4:5]
	s_cbranch_vccnz .LBB23_731
; %bb.730:
	v_cvt_i32_f32_e32 v3, v22
	global_store_dword v[1:2], v3, off
.LBB23_731:
	s_mov_b64 s[4:5], 0
.LBB23_732:
	s_andn2_b64 vcc, exec, s[4:5]
	s_cbranch_vccnz .LBB23_734
; %bb.733:
	v_cvt_i32_f32_e32 v3, v22
	global_store_short v[1:2], v3, off
.LBB23_734:
	s_mov_b64 s[4:5], 0
.LBB23_735:
	s_andn2_b64 vcc, exec, s[4:5]
	s_cbranch_vccnz .LBB23_740
; %bb.736:
	s_cmp_gt_i32 s8, 0
	s_mov_b64 s[4:5], -1
	s_cbranch_scc0 .LBB23_738
; %bb.737:
	v_cvt_i32_f32_e32 v3, v22
	s_mov_b64 s[4:5], 0
	global_store_byte v[1:2], v3, off
.LBB23_738:
	s_andn2_b64 vcc, exec, s[4:5]
	s_cbranch_vccnz .LBB23_740
; %bb.739:
	v_trunc_f32_e32 v3, v22
	s_mov_b32 s4, 0x2f800000
	v_mul_f32_e64 v4, |v3|, s4
	v_floor_f32_e32 v4, v4
	s_mov_b32 s4, 0xcf800000
	v_fma_f32 v4, v4, s4, |v3|
	v_cvt_u32_f32_e32 v4, v4
	v_ashrrev_i32_e32 v3, 31, v3
	v_xor_b32_e32 v4, v4, v3
	v_sub_u32_e32 v3, v4, v3
	global_store_byte v[1:2], v3, off
.LBB23_740:
.LBB23_741:
	s_lshr_b32 s4, s33, 8
	v_mov_b32_e32 v2, s37
	s_and_b32 s16, s4, 0xff
	v_add_co_u32_e32 v1, vcc, s36, v30
	s_cmp_lt_i32 s16, 11
	v_addc_co_u32_e32 v2, vcc, 0, v2, vcc
	s_cbranch_scc1 .LBB23_820
; %bb.742:
	s_and_b32 s17, 0xffff, s16
	s_mov_b64 s[12:13], -1
	s_mov_b64 s[8:9], 0
	s_cmp_gt_i32 s17, 25
	s_mov_b64 s[10:11], 0
	s_mov_b64 s[4:5], 0
	s_cbranch_scc0 .LBB23_775
; %bb.743:
	s_cmp_gt_i32 s17, 28
	s_cbranch_scc0 .LBB23_758
; %bb.744:
	s_cmp_gt_i32 s17, 43
	;; [unrolled: 3-line block ×3, first 2 shown]
	s_cbranch_scc0 .LBB23_748
; %bb.746:
	s_mov_b64 s[4:5], -1
	s_mov_b64 s[12:13], 0
	s_cmp_eq_u32 s17, 46
	s_cbranch_scc0 .LBB23_748
; %bb.747:
	v_bfe_u32 v3, v21, 16, 1
	s_movk_i32 s4, 0x7fff
	v_add3_u32 v3, v21, v3, s4
	v_cmp_o_f32_e32 vcc, v21, v21
	v_mov_b32_e32 v4, 0x7fc0
	v_cndmask_b32_sdwa v3, v4, v3, vcc dst_sel:DWORD dst_unused:UNUSED_PAD src0_sel:DWORD src1_sel:WORD_1
	global_store_dword v[1:2], v3, off
	s_mov_b64 s[4:5], 0
	s_mov_b64 s[10:11], -1
.LBB23_748:
	s_and_b64 vcc, exec, s[12:13]
	s_cbranch_vccz .LBB23_753
; %bb.749:
	s_cmp_eq_u32 s17, 44
	s_mov_b64 s[4:5], -1
	s_cbranch_scc0 .LBB23_753
; %bb.750:
	v_bfe_u32 v3, v21, 23, 8
	s_movk_i32 s4, 0xff
	v_cmp_ne_u32_e32 vcc, s4, v3
	v_mov_b32_e32 v4, 0xff
	s_and_saveexec_b64 s[10:11], vcc
; %bb.751:
	s_mov_b32 s4, 0x3fffff
	v_and_b32_e32 v5, 0x400000, v21
	v_and_or_b32 v3, v21, s4, v3
	v_cmp_ne_u32_e32 vcc, 0, v5
	v_cmp_ne_u32_e64 s[4:5], 0, v3
	s_and_b64 s[4:5], vcc, s[4:5]
	v_lshrrev_b32_e32 v4, 23, v21
	v_cndmask_b32_e64 v3, 0, 1, s[4:5]
	v_add_u32_e32 v4, v4, v3
; %bb.752:
	s_or_b64 exec, exec, s[10:11]
	s_mov_b64 s[4:5], 0
	s_mov_b64 s[10:11], -1
	global_store_byte v[1:2], v4, off
.LBB23_753:
	s_mov_b64 s[12:13], 0
.LBB23_754:
	s_and_b64 vcc, exec, s[12:13]
	s_cbranch_vccz .LBB23_757
; %bb.755:
	s_cmp_eq_u32 s17, 29
	s_mov_b64 s[4:5], -1
	s_cbranch_scc0 .LBB23_757
; %bb.756:
	v_trunc_f32_e32 v3, v21
	v_mul_f32_e32 v4, 0x2f800000, v3
	v_floor_f32_e32 v5, v4
	v_fmac_f32_e32 v3, 0xcf800000, v5
	v_cvt_u32_f32_e32 v4, v5
	v_cvt_u32_f32_e32 v3, v3
	s_mov_b64 s[4:5], 0
	s_mov_b64 s[10:11], -1
	global_store_dwordx2 v[1:2], v[3:4], off
.LBB23_757:
	s_mov_b64 s[12:13], 0
.LBB23_758:
	s_and_b64 vcc, exec, s[12:13]
	s_cbranch_vccz .LBB23_774
; %bb.759:
	s_cmp_lt_i32 s17, 27
	s_mov_b64 s[10:11], -1
	s_cbranch_scc1 .LBB23_765
; %bb.760:
	s_cmp_gt_i32 s17, 27
	s_cbranch_scc0 .LBB23_762
; %bb.761:
	v_cvt_u32_f32_e32 v3, v21
	s_mov_b64 s[10:11], 0
	global_store_dword v[1:2], v3, off
.LBB23_762:
	s_andn2_b64 vcc, exec, s[10:11]
	s_cbranch_vccnz .LBB23_764
; %bb.763:
	v_cvt_u32_f32_e32 v3, v21
	global_store_short v[1:2], v3, off
.LBB23_764:
	s_mov_b64 s[10:11], 0
.LBB23_765:
	s_andn2_b64 vcc, exec, s[10:11]
	s_cbranch_vccnz .LBB23_773
; %bb.766:
	v_and_b32_e32 v3, 0x7fffffff, v21
	s_mov_b32 s10, 0x43800000
	v_cmp_gt_u32_e32 vcc, s10, v3
	v_mov_b32_e32 v4, 0x80
	s_and_saveexec_b64 s[10:11], vcc
	s_cbranch_execz .LBB23_772
; %bb.767:
	s_mov_b32 s12, 0x3bffffff
	v_cmp_lt_u32_e32 vcc, s12, v3
	s_mov_b64 s[12:13], 0
                                        ; implicit-def: $vgpr3
	s_and_saveexec_b64 s[14:15], vcc
	s_xor_b64 s[14:15], exec, s[14:15]
	s_cbranch_execz .LBB23_1104
; %bb.768:
	v_bfe_u32 v3, v21, 20, 1
	s_mov_b32 s18, 0x487ffff
	v_add3_u32 v3, v21, v3, s18
	s_mov_b64 s[12:13], exec
	v_lshrrev_b32_e32 v3, 20, v3
	s_andn2_saveexec_b64 s[14:15], s[14:15]
	s_cbranch_execnz .LBB23_1105
.LBB23_769:
	s_or_b64 exec, exec, s[14:15]
	v_mov_b32_e32 v4, 0
	s_and_saveexec_b64 s[14:15], s[12:13]
.LBB23_770:
	v_lshrrev_b32_e32 v4, 24, v21
	s_movk_i32 s12, 0x80
	v_and_or_b32 v4, v4, s12, v3
.LBB23_771:
	s_or_b64 exec, exec, s[14:15]
.LBB23_772:
	s_or_b64 exec, exec, s[10:11]
	global_store_byte v[1:2], v4, off
.LBB23_773:
	s_mov_b64 s[10:11], -1
.LBB23_774:
	s_mov_b64 s[12:13], 0
.LBB23_775:
	s_and_b64 vcc, exec, s[12:13]
	s_cbranch_vccz .LBB23_815
; %bb.776:
	s_cmp_gt_i32 s17, 22
	s_mov_b64 s[8:9], -1
	s_cbranch_scc0 .LBB23_808
; %bb.777:
	s_cmp_lt_i32 s17, 24
	s_cbranch_scc1 .LBB23_797
; %bb.778:
	s_cmp_gt_i32 s17, 24
	s_cbranch_scc0 .LBB23_786
; %bb.779:
	v_and_b32_e32 v3, 0x7fffffff, v21
	s_mov_b32 s8, 0x47800000
	v_cmp_gt_u32_e32 vcc, s8, v3
	v_mov_b32_e32 v4, 0x80
	s_and_saveexec_b64 s[8:9], vcc
	s_cbranch_execz .LBB23_785
; %bb.780:
	s_mov_b32 s10, 0x37ffffff
	v_cmp_lt_u32_e32 vcc, s10, v3
	s_mov_b64 s[10:11], 0
                                        ; implicit-def: $vgpr3
	s_and_saveexec_b64 s[12:13], vcc
	s_xor_b64 s[12:13], exec, s[12:13]
	s_cbranch_execz .LBB23_1107
; %bb.781:
	v_bfe_u32 v3, v21, 21, 1
	s_mov_b32 s14, 0x88fffff
	v_add3_u32 v3, v21, v3, s14
	s_mov_b64 s[10:11], exec
	v_lshrrev_b32_e32 v3, 21, v3
	s_andn2_saveexec_b64 s[12:13], s[12:13]
	s_cbranch_execnz .LBB23_1108
.LBB23_782:
	s_or_b64 exec, exec, s[12:13]
	v_mov_b32_e32 v4, 0
	s_and_saveexec_b64 s[12:13], s[10:11]
.LBB23_783:
	v_lshrrev_b32_e32 v4, 24, v21
	s_movk_i32 s10, 0x80
	v_and_or_b32 v4, v4, s10, v3
.LBB23_784:
	s_or_b64 exec, exec, s[12:13]
.LBB23_785:
	s_or_b64 exec, exec, s[8:9]
	s_mov_b64 s[8:9], 0
	global_store_byte v[1:2], v4, off
.LBB23_786:
	s_and_b64 vcc, exec, s[8:9]
	s_cbranch_vccz .LBB23_796
; %bb.787:
	v_and_b32_e32 v4, 0x7fffffff, v21
	s_mov_b32 s8, 0x43f00000
	v_cmp_gt_u32_e32 vcc, s8, v4
                                        ; implicit-def: $vgpr3
	s_and_saveexec_b64 s[8:9], vcc
	s_xor_b64 s[8:9], exec, s[8:9]
	s_cbranch_execz .LBB23_793
; %bb.788:
	s_mov_b32 s10, 0x3c7fffff
	v_cmp_lt_u32_e32 vcc, s10, v4
                                        ; implicit-def: $vgpr3
	s_and_saveexec_b64 s[10:11], vcc
	s_xor_b64 s[10:11], exec, s[10:11]
; %bb.789:
	v_bfe_u32 v3, v21, 20, 1
	s_mov_b32 s12, 0x407ffff
	v_add3_u32 v3, v21, v3, s12
	v_lshrrev_b32_e32 v4, 20, v3
	v_and_b32_e32 v3, 0xff00000, v3
	s_mov_b32 s12, 0x7f00000
	v_mov_b32_e32 v5, 0x7e
	v_cmp_ne_u32_e32 vcc, s12, v3
	v_cndmask_b32_e32 v3, v5, v4, vcc
; %bb.790:
	s_andn2_saveexec_b64 s[10:11], s[10:11]
; %bb.791:
	s_mov_b32 s12, 0x46800000
	v_add_f32_e64 v3, |v21|, s12
; %bb.792:
	s_or_b64 exec, exec, s[10:11]
                                        ; implicit-def: $vgpr4
.LBB23_793:
	s_andn2_saveexec_b64 s[8:9], s[8:9]
; %bb.794:
	s_mov_b32 s10, 0x7f800000
	v_mov_b32_e32 v3, 0x7e
	v_mov_b32_e32 v5, 0x7f
	v_cmp_lt_u32_e32 vcc, s10, v4
	v_cndmask_b32_e32 v3, v3, v5, vcc
; %bb.795:
	s_or_b64 exec, exec, s[8:9]
	v_lshrrev_b32_e32 v4, 24, v21
	s_movk_i32 s8, 0x80
	v_and_or_b32 v3, v4, s8, v3
	global_store_byte v[1:2], v3, off
.LBB23_796:
	s_mov_b64 s[8:9], 0
.LBB23_797:
	s_andn2_b64 vcc, exec, s[8:9]
	s_cbranch_vccnz .LBB23_807
; %bb.798:
	v_and_b32_e32 v4, 0x7fffffff, v21
	s_mov_b32 s8, 0x47800000
	v_cmp_gt_u32_e32 vcc, s8, v4
                                        ; implicit-def: $vgpr3
	s_and_saveexec_b64 s[8:9], vcc
	s_xor_b64 s[8:9], exec, s[8:9]
	s_cbranch_execz .LBB23_804
; %bb.799:
	s_mov_b32 s10, 0x387fffff
	v_cmp_lt_u32_e32 vcc, s10, v4
                                        ; implicit-def: $vgpr3
	s_and_saveexec_b64 s[10:11], vcc
	s_xor_b64 s[10:11], exec, s[10:11]
; %bb.800:
	v_bfe_u32 v3, v21, 21, 1
	s_mov_b32 s12, 0x80fffff
	v_add3_u32 v3, v21, v3, s12
	v_lshrrev_b32_e32 v3, 21, v3
; %bb.801:
	s_andn2_saveexec_b64 s[10:11], s[10:11]
; %bb.802:
	s_mov_b32 s12, 0x43000000
	v_add_f32_e64 v3, |v21|, s12
; %bb.803:
	s_or_b64 exec, exec, s[10:11]
                                        ; implicit-def: $vgpr4
.LBB23_804:
	s_andn2_saveexec_b64 s[8:9], s[8:9]
; %bb.805:
	s_mov_b32 s10, 0x7f800000
	v_mov_b32_e32 v3, 0x7c
	v_mov_b32_e32 v5, 0x7f
	v_cmp_lt_u32_e32 vcc, s10, v4
	v_cndmask_b32_e32 v3, v3, v5, vcc
; %bb.806:
	s_or_b64 exec, exec, s[8:9]
	v_lshrrev_b32_e32 v4, 24, v21
	s_movk_i32 s8, 0x80
	v_and_or_b32 v3, v4, s8, v3
	global_store_byte v[1:2], v3, off
.LBB23_807:
	s_mov_b64 s[8:9], 0
	s_mov_b64 s[10:11], -1
.LBB23_808:
	s_andn2_b64 vcc, exec, s[8:9]
	s_mov_b64 s[8:9], 0
	s_cbranch_vccnz .LBB23_815
; %bb.809:
	s_cmp_gt_i32 s17, 14
	s_mov_b64 s[12:13], -1
	s_cbranch_scc0 .LBB23_813
; %bb.810:
	s_cmp_eq_u32 s17, 15
	s_mov_b64 s[4:5], -1
	s_cbranch_scc0 .LBB23_812
; %bb.811:
	v_bfe_u32 v3, v21, 16, 1
	s_movk_i32 s4, 0x7fff
	v_add3_u32 v3, v21, v3, s4
	v_cmp_o_f32_e32 vcc, v21, v21
	v_mov_b32_e32 v4, 0x7fc0
	v_cndmask_b32_sdwa v3, v4, v3, vcc dst_sel:DWORD dst_unused:UNUSED_PAD src0_sel:DWORD src1_sel:WORD_1
	global_store_short v[1:2], v3, off
	s_mov_b64 s[4:5], 0
	s_mov_b64 s[10:11], -1
.LBB23_812:
	s_mov_b64 s[12:13], 0
.LBB23_813:
	s_and_b64 vcc, exec, s[12:13]
	s_cbranch_vccz .LBB23_815
; %bb.814:
	s_cmp_lg_u32 s17, 11
	s_mov_b64 s[8:9], -1
	s_cselect_b64 s[4:5], -1, 0
.LBB23_815:
	s_and_b64 vcc, exec, s[4:5]
	s_cbranch_vccnz .LBB23_1106
; %bb.816:
	s_andn2_b64 vcc, exec, s[8:9]
	s_cbranch_vccnz .LBB23_818
.LBB23_817:
	v_cmp_neq_f32_e32 vcc, 0, v21
	v_cndmask_b32_e64 v3, 0, 1, vcc
	s_mov_b64 s[10:11], -1
	global_store_byte v[1:2], v3, off
.LBB23_818:
.LBB23_819:
	s_andn2_b64 vcc, exec, s[10:11]
	s_cbranch_vccz .LBB23_859
	s_branch .LBB23_1053
.LBB23_820:
	s_mov_b64 s[10:11], 0
	s_cbranch_execz .LBB23_819
; %bb.821:
	s_and_b32 s8, 0xffff, s16
	s_cmp_lt_i32 s8, 5
	s_mov_b64 s[4:5], -1
	s_cbranch_scc1 .LBB23_842
; %bb.822:
	s_cmp_lt_i32 s8, 8
	s_cbranch_scc1 .LBB23_832
; %bb.823:
	s_cmp_lt_i32 s8, 9
	s_cbranch_scc1 .LBB23_829
; %bb.824:
	s_cmp_gt_i32 s8, 9
	s_cbranch_scc0 .LBB23_826
; %bb.825:
	v_cvt_f64_f32_e32 v[3:4], v21
	v_mov_b32_e32 v5, 0
	v_mov_b32_e32 v6, v5
	s_mov_b64 s[4:5], 0
	global_store_dwordx4 v[1:2], v[3:6], off
.LBB23_826:
	s_andn2_b64 vcc, exec, s[4:5]
	s_cbranch_vccnz .LBB23_828
; %bb.827:
	v_mov_b32_e32 v22, 0
	global_store_dwordx2 v[1:2], v[21:22], off
.LBB23_828:
	s_mov_b64 s[4:5], 0
.LBB23_829:
	s_andn2_b64 vcc, exec, s[4:5]
	s_cbranch_vccnz .LBB23_831
; %bb.830:
	v_cvt_f16_f32_e32 v3, v21
	global_store_dword v[1:2], v3, off
.LBB23_831:
	s_mov_b64 s[4:5], 0
.LBB23_832:
	s_andn2_b64 vcc, exec, s[4:5]
	s_cbranch_vccnz .LBB23_841
; %bb.833:
	s_cmp_lt_i32 s8, 6
	s_mov_b64 s[4:5], -1
	s_cbranch_scc1 .LBB23_839
; %bb.834:
	s_cmp_gt_i32 s8, 6
	s_cbranch_scc0 .LBB23_836
; %bb.835:
	v_cvt_f64_f32_e32 v[3:4], v21
	s_mov_b64 s[4:5], 0
	global_store_dwordx2 v[1:2], v[3:4], off
.LBB23_836:
	s_andn2_b64 vcc, exec, s[4:5]
	s_cbranch_vccnz .LBB23_838
; %bb.837:
	global_store_dword v[1:2], v21, off
.LBB23_838:
	s_mov_b64 s[4:5], 0
.LBB23_839:
	s_andn2_b64 vcc, exec, s[4:5]
	s_cbranch_vccnz .LBB23_841
; %bb.840:
	v_cvt_f16_f32_e32 v3, v21
	global_store_short v[1:2], v3, off
.LBB23_841:
	s_mov_b64 s[4:5], 0
.LBB23_842:
	s_andn2_b64 vcc, exec, s[4:5]
	s_cbranch_vccnz .LBB23_858
; %bb.843:
	s_cmp_lt_i32 s8, 2
	s_mov_b64 s[4:5], -1
	s_cbranch_scc1 .LBB23_853
; %bb.844:
	s_cmp_lt_i32 s8, 3
	s_cbranch_scc1 .LBB23_850
; %bb.845:
	s_cmp_gt_i32 s8, 3
	s_cbranch_scc0 .LBB23_847
; %bb.846:
	v_trunc_f32_e32 v3, v21
	s_mov_b32 s4, 0x2f800000
	v_mul_f32_e64 v4, |v3|, s4
	v_floor_f32_e32 v4, v4
	s_mov_b32 s4, 0xcf800000
	v_cvt_u32_f32_e32 v5, v4
	v_fma_f32 v4, v4, s4, |v3|
	v_cvt_u32_f32_e32 v4, v4
	v_ashrrev_i32_e32 v6, 31, v3
	v_xor_b32_e32 v5, v5, v6
	s_mov_b64 s[4:5], 0
	v_xor_b32_e32 v3, v4, v6
	v_sub_co_u32_e32 v3, vcc, v3, v6
	v_subb_co_u32_e32 v4, vcc, v5, v6, vcc
	global_store_dwordx2 v[1:2], v[3:4], off
.LBB23_847:
	s_andn2_b64 vcc, exec, s[4:5]
	s_cbranch_vccnz .LBB23_849
; %bb.848:
	v_cvt_i32_f32_e32 v3, v21
	global_store_dword v[1:2], v3, off
.LBB23_849:
	s_mov_b64 s[4:5], 0
.LBB23_850:
	s_andn2_b64 vcc, exec, s[4:5]
	s_cbranch_vccnz .LBB23_852
; %bb.851:
	v_cvt_i32_f32_e32 v3, v21
	global_store_short v[1:2], v3, off
.LBB23_852:
	s_mov_b64 s[4:5], 0
.LBB23_853:
	s_andn2_b64 vcc, exec, s[4:5]
	s_cbranch_vccnz .LBB23_858
; %bb.854:
	s_cmp_gt_i32 s8, 0
	s_mov_b64 s[4:5], -1
	s_cbranch_scc0 .LBB23_856
; %bb.855:
	v_cvt_i32_f32_e32 v3, v21
	s_mov_b64 s[4:5], 0
	global_store_byte v[1:2], v3, off
.LBB23_856:
	s_andn2_b64 vcc, exec, s[4:5]
	s_cbranch_vccnz .LBB23_858
; %bb.857:
	v_trunc_f32_e32 v3, v21
	s_mov_b32 s4, 0x2f800000
	v_mul_f32_e64 v4, |v3|, s4
	v_floor_f32_e32 v4, v4
	s_mov_b32 s4, 0xcf800000
	v_fma_f32 v4, v4, s4, |v3|
	v_cvt_u32_f32_e32 v4, v4
	v_ashrrev_i32_e32 v3, 31, v3
	v_xor_b32_e32 v4, v4, v3
	v_sub_u32_e32 v3, v4, v3
	global_store_byte v[1:2], v3, off
.LBB23_858:
.LBB23_859:
	v_mov_b32_e32 v2, s37
	v_add_co_u32_e32 v1, vcc, s36, v28
	s_cmp_lt_i32 s16, 11
	v_addc_co_u32_e32 v2, vcc, 0, v2, vcc
	s_cbranch_scc1 .LBB23_1014
; %bb.860:
	s_and_b32 s17, 0xffff, s16
	s_mov_b64 s[12:13], -1
	s_mov_b64 s[8:9], 0
	s_cmp_gt_i32 s17, 25
	s_mov_b64 s[10:11], 0
	s_mov_b64 s[4:5], 0
	s_cbranch_scc0 .LBB23_893
; %bb.861:
	s_cmp_gt_i32 s17, 28
	s_cbranch_scc0 .LBB23_876
; %bb.862:
	s_cmp_gt_i32 s17, 43
	;; [unrolled: 3-line block ×3, first 2 shown]
	s_cbranch_scc0 .LBB23_866
; %bb.864:
	s_mov_b64 s[4:5], -1
	s_mov_b64 s[12:13], 0
	s_cmp_eq_u32 s17, 46
	s_cbranch_scc0 .LBB23_866
; %bb.865:
	v_bfe_u32 v3, v20, 16, 1
	s_movk_i32 s4, 0x7fff
	v_add3_u32 v3, v20, v3, s4
	v_cmp_o_f32_e32 vcc, v20, v20
	v_mov_b32_e32 v4, 0x7fc0
	v_cndmask_b32_sdwa v3, v4, v3, vcc dst_sel:DWORD dst_unused:UNUSED_PAD src0_sel:DWORD src1_sel:WORD_1
	global_store_dword v[1:2], v3, off
	s_mov_b64 s[4:5], 0
	s_mov_b64 s[10:11], -1
.LBB23_866:
	s_and_b64 vcc, exec, s[12:13]
	s_cbranch_vccz .LBB23_871
; %bb.867:
	s_cmp_eq_u32 s17, 44
	s_mov_b64 s[4:5], -1
	s_cbranch_scc0 .LBB23_871
; %bb.868:
	v_bfe_u32 v3, v20, 23, 8
	s_movk_i32 s4, 0xff
	v_cmp_ne_u32_e32 vcc, s4, v3
	v_mov_b32_e32 v4, 0xff
	s_and_saveexec_b64 s[10:11], vcc
; %bb.869:
	s_mov_b32 s4, 0x3fffff
	v_and_b32_e32 v5, 0x400000, v20
	v_and_or_b32 v3, v20, s4, v3
	v_cmp_ne_u32_e32 vcc, 0, v5
	v_cmp_ne_u32_e64 s[4:5], 0, v3
	s_and_b64 s[4:5], vcc, s[4:5]
	v_lshrrev_b32_e32 v4, 23, v20
	v_cndmask_b32_e64 v3, 0, 1, s[4:5]
	v_add_u32_e32 v4, v4, v3
; %bb.870:
	s_or_b64 exec, exec, s[10:11]
	s_mov_b64 s[4:5], 0
	s_mov_b64 s[10:11], -1
	global_store_byte v[1:2], v4, off
.LBB23_871:
	s_mov_b64 s[12:13], 0
.LBB23_872:
	s_and_b64 vcc, exec, s[12:13]
	s_cbranch_vccz .LBB23_875
; %bb.873:
	s_cmp_eq_u32 s17, 29
	s_mov_b64 s[4:5], -1
	s_cbranch_scc0 .LBB23_875
; %bb.874:
	v_trunc_f32_e32 v3, v20
	v_mul_f32_e32 v4, 0x2f800000, v3
	v_floor_f32_e32 v5, v4
	v_fmac_f32_e32 v3, 0xcf800000, v5
	v_cvt_u32_f32_e32 v4, v5
	v_cvt_u32_f32_e32 v3, v3
	s_mov_b64 s[4:5], 0
	s_mov_b64 s[10:11], -1
	global_store_dwordx2 v[1:2], v[3:4], off
.LBB23_875:
	s_mov_b64 s[12:13], 0
.LBB23_876:
	s_and_b64 vcc, exec, s[12:13]
	s_cbranch_vccz .LBB23_892
; %bb.877:
	s_cmp_lt_i32 s17, 27
	s_mov_b64 s[10:11], -1
	s_cbranch_scc1 .LBB23_883
; %bb.878:
	v_cvt_u32_f32_e32 v3, v20
	s_cmp_gt_i32 s17, 27
	s_cbranch_scc0 .LBB23_880
; %bb.879:
	s_mov_b64 s[10:11], 0
	global_store_dword v[1:2], v3, off
.LBB23_880:
	s_andn2_b64 vcc, exec, s[10:11]
	s_cbranch_vccnz .LBB23_882
; %bb.881:
	global_store_short v[1:2], v3, off
.LBB23_882:
	s_mov_b64 s[10:11], 0
.LBB23_883:
	s_andn2_b64 vcc, exec, s[10:11]
	s_cbranch_vccnz .LBB23_891
; %bb.884:
	v_and_b32_e32 v3, 0x7fffffff, v20
	s_mov_b32 s10, 0x43800000
	v_cmp_gt_u32_e32 vcc, s10, v3
	v_mov_b32_e32 v4, 0x80
	s_and_saveexec_b64 s[10:11], vcc
	s_cbranch_execz .LBB23_890
; %bb.885:
	s_mov_b32 s12, 0x3bffffff
	v_cmp_lt_u32_e32 vcc, s12, v3
	s_mov_b64 s[12:13], 0
                                        ; implicit-def: $vgpr3
	s_and_saveexec_b64 s[14:15], vcc
	s_xor_b64 s[14:15], exec, s[14:15]
	s_cbranch_execz .LBB23_1109
; %bb.886:
	v_bfe_u32 v3, v20, 20, 1
	s_mov_b32 s18, 0x487ffff
	v_add3_u32 v3, v20, v3, s18
	s_mov_b64 s[12:13], exec
	v_lshrrev_b32_e32 v3, 20, v3
	s_andn2_saveexec_b64 s[14:15], s[14:15]
	s_cbranch_execnz .LBB23_1110
.LBB23_887:
	s_or_b64 exec, exec, s[14:15]
	v_mov_b32_e32 v4, 0
	s_and_saveexec_b64 s[14:15], s[12:13]
.LBB23_888:
	v_lshrrev_b32_e32 v4, 24, v20
	s_movk_i32 s12, 0x80
	v_and_or_b32 v4, v4, s12, v3
.LBB23_889:
	s_or_b64 exec, exec, s[14:15]
.LBB23_890:
	s_or_b64 exec, exec, s[10:11]
	global_store_byte v[1:2], v4, off
.LBB23_891:
	s_mov_b64 s[10:11], -1
.LBB23_892:
	s_mov_b64 s[12:13], 0
.LBB23_893:
	s_and_b64 vcc, exec, s[12:13]
	s_cbranch_vccz .LBB23_933
; %bb.894:
	s_cmp_gt_i32 s17, 22
	s_mov_b64 s[8:9], -1
	s_cbranch_scc0 .LBB23_926
; %bb.895:
	s_cmp_lt_i32 s17, 24
	s_cbranch_scc1 .LBB23_915
; %bb.896:
	s_cmp_gt_i32 s17, 24
	s_cbranch_scc0 .LBB23_904
; %bb.897:
	v_and_b32_e32 v3, 0x7fffffff, v20
	s_mov_b32 s8, 0x47800000
	v_cmp_gt_u32_e32 vcc, s8, v3
	v_mov_b32_e32 v4, 0x80
	s_and_saveexec_b64 s[8:9], vcc
	s_cbranch_execz .LBB23_903
; %bb.898:
	s_mov_b32 s10, 0x37ffffff
	v_cmp_lt_u32_e32 vcc, s10, v3
	s_mov_b64 s[10:11], 0
                                        ; implicit-def: $vgpr3
	s_and_saveexec_b64 s[12:13], vcc
	s_xor_b64 s[12:13], exec, s[12:13]
	s_cbranch_execz .LBB23_1114
; %bb.899:
	v_bfe_u32 v3, v20, 21, 1
	s_mov_b32 s14, 0x88fffff
	v_add3_u32 v3, v20, v3, s14
	s_mov_b64 s[10:11], exec
	v_lshrrev_b32_e32 v3, 21, v3
	s_andn2_saveexec_b64 s[12:13], s[12:13]
	s_cbranch_execnz .LBB23_1115
.LBB23_900:
	s_or_b64 exec, exec, s[12:13]
	v_mov_b32_e32 v4, 0
	s_and_saveexec_b64 s[12:13], s[10:11]
.LBB23_901:
	v_lshrrev_b32_e32 v4, 24, v20
	s_movk_i32 s10, 0x80
	v_and_or_b32 v4, v4, s10, v3
.LBB23_902:
	s_or_b64 exec, exec, s[12:13]
.LBB23_903:
	s_or_b64 exec, exec, s[8:9]
	s_mov_b64 s[8:9], 0
	global_store_byte v[1:2], v4, off
.LBB23_904:
	s_and_b64 vcc, exec, s[8:9]
	s_cbranch_vccz .LBB23_914
; %bb.905:
	v_and_b32_e32 v4, 0x7fffffff, v20
	s_mov_b32 s8, 0x43f00000
	v_cmp_gt_u32_e32 vcc, s8, v4
                                        ; implicit-def: $vgpr3
	s_and_saveexec_b64 s[8:9], vcc
	s_xor_b64 s[8:9], exec, s[8:9]
	s_cbranch_execz .LBB23_911
; %bb.906:
	s_mov_b32 s10, 0x3c7fffff
	v_cmp_lt_u32_e32 vcc, s10, v4
                                        ; implicit-def: $vgpr3
	s_and_saveexec_b64 s[10:11], vcc
	s_xor_b64 s[10:11], exec, s[10:11]
; %bb.907:
	v_bfe_u32 v3, v20, 20, 1
	s_mov_b32 s12, 0x407ffff
	v_add3_u32 v3, v20, v3, s12
	v_lshrrev_b32_e32 v4, 20, v3
	v_and_b32_e32 v3, 0xff00000, v3
	s_mov_b32 s12, 0x7f00000
	v_mov_b32_e32 v5, 0x7e
	v_cmp_ne_u32_e32 vcc, s12, v3
	v_cndmask_b32_e32 v3, v5, v4, vcc
; %bb.908:
	s_andn2_saveexec_b64 s[10:11], s[10:11]
; %bb.909:
	s_mov_b32 s12, 0x46800000
	v_add_f32_e64 v3, |v20|, s12
; %bb.910:
	s_or_b64 exec, exec, s[10:11]
                                        ; implicit-def: $vgpr4
.LBB23_911:
	s_andn2_saveexec_b64 s[8:9], s[8:9]
; %bb.912:
	s_mov_b32 s10, 0x7f800000
	v_mov_b32_e32 v3, 0x7e
	v_mov_b32_e32 v5, 0x7f
	v_cmp_lt_u32_e32 vcc, s10, v4
	v_cndmask_b32_e32 v3, v3, v5, vcc
; %bb.913:
	s_or_b64 exec, exec, s[8:9]
	v_lshrrev_b32_e32 v4, 24, v20
	s_movk_i32 s8, 0x80
	v_and_or_b32 v3, v4, s8, v3
	global_store_byte v[1:2], v3, off
.LBB23_914:
	s_mov_b64 s[8:9], 0
.LBB23_915:
	s_andn2_b64 vcc, exec, s[8:9]
	s_cbranch_vccnz .LBB23_925
; %bb.916:
	v_and_b32_e32 v4, 0x7fffffff, v20
	s_mov_b32 s8, 0x47800000
	v_cmp_gt_u32_e32 vcc, s8, v4
                                        ; implicit-def: $vgpr3
	s_and_saveexec_b64 s[8:9], vcc
	s_xor_b64 s[8:9], exec, s[8:9]
	s_cbranch_execz .LBB23_922
; %bb.917:
	s_mov_b32 s10, 0x387fffff
	v_cmp_lt_u32_e32 vcc, s10, v4
                                        ; implicit-def: $vgpr3
	s_and_saveexec_b64 s[10:11], vcc
	s_xor_b64 s[10:11], exec, s[10:11]
; %bb.918:
	v_bfe_u32 v3, v20, 21, 1
	s_mov_b32 s12, 0x80fffff
	v_add3_u32 v3, v20, v3, s12
	v_lshrrev_b32_e32 v3, 21, v3
; %bb.919:
	s_andn2_saveexec_b64 s[10:11], s[10:11]
; %bb.920:
	s_mov_b32 s12, 0x43000000
	v_add_f32_e64 v3, |v20|, s12
; %bb.921:
	s_or_b64 exec, exec, s[10:11]
                                        ; implicit-def: $vgpr4
.LBB23_922:
	s_andn2_saveexec_b64 s[8:9], s[8:9]
; %bb.923:
	s_mov_b32 s10, 0x7f800000
	v_mov_b32_e32 v3, 0x7c
	v_mov_b32_e32 v5, 0x7f
	v_cmp_lt_u32_e32 vcc, s10, v4
	v_cndmask_b32_e32 v3, v3, v5, vcc
; %bb.924:
	s_or_b64 exec, exec, s[8:9]
	v_lshrrev_b32_e32 v4, 24, v20
	s_movk_i32 s8, 0x80
	v_and_or_b32 v3, v4, s8, v3
	global_store_byte v[1:2], v3, off
.LBB23_925:
	s_mov_b64 s[8:9], 0
	s_mov_b64 s[10:11], -1
.LBB23_926:
	s_andn2_b64 vcc, exec, s[8:9]
	s_mov_b64 s[8:9], 0
	s_cbranch_vccnz .LBB23_933
; %bb.927:
	s_cmp_gt_i32 s17, 14
	s_mov_b64 s[12:13], -1
	s_cbranch_scc0 .LBB23_931
; %bb.928:
	s_cmp_eq_u32 s17, 15
	s_mov_b64 s[4:5], -1
	s_cbranch_scc0 .LBB23_930
; %bb.929:
	v_bfe_u32 v3, v20, 16, 1
	s_movk_i32 s4, 0x7fff
	v_add3_u32 v3, v20, v3, s4
	v_cmp_o_f32_e32 vcc, v20, v20
	v_mov_b32_e32 v4, 0x7fc0
	v_cndmask_b32_sdwa v3, v4, v3, vcc dst_sel:DWORD dst_unused:UNUSED_PAD src0_sel:DWORD src1_sel:WORD_1
	global_store_short v[1:2], v3, off
	s_mov_b64 s[4:5], 0
	s_mov_b64 s[10:11], -1
.LBB23_930:
	s_mov_b64 s[12:13], 0
.LBB23_931:
	s_and_b64 vcc, exec, s[12:13]
	s_cbranch_vccz .LBB23_933
; %bb.932:
	s_cmp_lg_u32 s17, 11
	s_mov_b64 s[8:9], -1
	s_cselect_b64 s[4:5], -1, 0
.LBB23_933:
	s_and_b64 vcc, exec, s[4:5]
	s_cbranch_vccnz .LBB23_1111
; %bb.934:
	s_andn2_b64 vcc, exec, s[8:9]
	s_cbranch_vccnz .LBB23_936
.LBB23_935:
	v_cmp_neq_f32_e32 vcc, 0, v20
	v_cndmask_b32_e64 v3, 0, 1, vcc
	s_mov_b64 s[10:11], -1
	global_store_byte v[1:2], v3, off
.LBB23_936:
.LBB23_937:
	s_andn2_b64 vcc, exec, s[10:11]
	s_cbranch_vccnz .LBB23_1053
.LBB23_938:
	v_mov_b32_e32 v1, s37
	v_add_co_u32_e32 v2, vcc, s36, v26
	s_cmp_lt_i32 s16, 11
	v_addc_co_u32_e32 v3, vcc, 0, v1, vcc
	s_cbranch_scc1 .LBB23_1098
; %bb.939:
	s_and_b32 s17, 0xffff, s16
	s_mov_b64 s[10:11], -1
	s_mov_b64 s[8:9], 0
	s_cmp_gt_i32 s17, 25
	s_mov_b64 s[4:5], 0
	s_cbranch_scc0 .LBB23_972
; %bb.940:
	s_cmp_gt_i32 s17, 28
	s_cbranch_scc0 .LBB23_956
; %bb.941:
	s_cmp_gt_i32 s17, 43
	;; [unrolled: 3-line block ×3, first 2 shown]
	s_cbranch_scc0 .LBB23_946
; %bb.943:
	s_cmp_eq_u32 s17, 46
	s_mov_b64 s[4:5], -1
	s_cbranch_scc0 .LBB23_945
; %bb.944:
	v_bfe_u32 v1, v0, 16, 1
	s_movk_i32 s4, 0x7fff
	v_add3_u32 v1, v0, v1, s4
	v_cmp_o_f32_e32 vcc, v0, v0
	v_mov_b32_e32 v4, 0x7fc0
	v_cndmask_b32_sdwa v1, v4, v1, vcc dst_sel:DWORD dst_unused:UNUSED_PAD src0_sel:DWORD src1_sel:WORD_1
	global_store_dword v[2:3], v1, off
	s_mov_b64 s[4:5], 0
.LBB23_945:
	s_mov_b64 s[10:11], 0
.LBB23_946:
	s_and_b64 vcc, exec, s[10:11]
	s_cbranch_vccz .LBB23_951
; %bb.947:
	s_cmp_eq_u32 s17, 44
	s_mov_b64 s[4:5], -1
	s_cbranch_scc0 .LBB23_951
; %bb.948:
	v_bfe_u32 v1, v0, 23, 8
	s_movk_i32 s4, 0xff
	v_cmp_ne_u32_e32 vcc, s4, v1
	v_mov_b32_e32 v4, 0xff
	s_and_saveexec_b64 s[10:11], vcc
; %bb.949:
	s_mov_b32 s4, 0x3fffff
	v_and_b32_e32 v5, 0x400000, v0
	v_and_or_b32 v1, v0, s4, v1
	v_cmp_ne_u32_e32 vcc, 0, v5
	v_cmp_ne_u32_e64 s[4:5], 0, v1
	s_and_b64 s[4:5], vcc, s[4:5]
	v_lshrrev_b32_e32 v4, 23, v0
	v_cndmask_b32_e64 v1, 0, 1, s[4:5]
	v_add_u32_e32 v4, v4, v1
; %bb.950:
	s_or_b64 exec, exec, s[10:11]
	s_mov_b64 s[4:5], 0
	global_store_byte v[2:3], v4, off
.LBB23_951:
	s_mov_b64 s[10:11], 0
.LBB23_952:
	s_and_b64 vcc, exec, s[10:11]
	s_cbranch_vccz .LBB23_955
; %bb.953:
	s_cmp_eq_u32 s17, 29
	s_mov_b64 s[4:5], -1
	s_cbranch_scc0 .LBB23_955
; %bb.954:
	v_trunc_f32_e32 v1, v0
	v_mul_f32_e32 v4, 0x2f800000, v1
	v_floor_f32_e32 v4, v4
	v_fmac_f32_e32 v1, 0xcf800000, v4
	v_cvt_u32_f32_e32 v5, v4
	v_cvt_u32_f32_e32 v4, v1
	s_mov_b64 s[4:5], 0
	global_store_dwordx2 v[2:3], v[4:5], off
.LBB23_955:
	s_mov_b64 s[10:11], 0
.LBB23_956:
	s_and_b64 vcc, exec, s[10:11]
	s_cbranch_vccz .LBB23_971
; %bb.957:
	s_cmp_lt_i32 s17, 27
	s_mov_b64 s[10:11], -1
	s_cbranch_scc1 .LBB23_963
; %bb.958:
	v_cvt_u32_f32_e32 v1, v0
	s_cmp_gt_i32 s17, 27
	s_cbranch_scc0 .LBB23_960
; %bb.959:
	global_store_dword v[2:3], v1, off
	s_mov_b64 s[10:11], 0
.LBB23_960:
	s_andn2_b64 vcc, exec, s[10:11]
	s_cbranch_vccnz .LBB23_962
; %bb.961:
	global_store_short v[2:3], v1, off
.LBB23_962:
	s_mov_b64 s[10:11], 0
.LBB23_963:
	s_andn2_b64 vcc, exec, s[10:11]
	s_cbranch_vccnz .LBB23_971
; %bb.964:
	v_and_b32_e32 v1, 0x7fffffff, v0
	s_mov_b32 s10, 0x43800000
	v_cmp_gt_u32_e32 vcc, s10, v1
	v_mov_b32_e32 v4, 0x80
	s_and_saveexec_b64 s[10:11], vcc
	s_cbranch_execz .LBB23_970
; %bb.965:
	s_mov_b32 s12, 0x3bffffff
	v_cmp_lt_u32_e32 vcc, s12, v1
	s_mov_b64 s[12:13], 0
                                        ; implicit-def: $vgpr1
	s_and_saveexec_b64 s[14:15], vcc
	s_xor_b64 s[14:15], exec, s[14:15]
	s_cbranch_execz .LBB23_1116
; %bb.966:
	v_bfe_u32 v1, v0, 20, 1
	s_mov_b32 s18, 0x487ffff
	v_add3_u32 v1, v0, v1, s18
	s_mov_b64 s[12:13], exec
	v_lshrrev_b32_e32 v1, 20, v1
	s_andn2_saveexec_b64 s[14:15], s[14:15]
	s_cbranch_execnz .LBB23_1117
.LBB23_967:
	s_or_b64 exec, exec, s[14:15]
	v_mov_b32_e32 v4, 0
	s_and_saveexec_b64 s[14:15], s[12:13]
.LBB23_968:
	v_lshrrev_b32_e32 v4, 24, v0
	s_movk_i32 s12, 0x80
	v_and_or_b32 v4, v4, s12, v1
.LBB23_969:
	s_or_b64 exec, exec, s[14:15]
.LBB23_970:
	s_or_b64 exec, exec, s[10:11]
	global_store_byte v[2:3], v4, off
.LBB23_971:
	s_mov_b64 s[10:11], 0
.LBB23_972:
	s_and_b64 vcc, exec, s[10:11]
	s_cbranch_vccz .LBB23_1012
; %bb.973:
	s_cmp_gt_i32 s17, 22
	s_mov_b64 s[8:9], -1
	s_cbranch_scc0 .LBB23_1005
; %bb.974:
	s_cmp_lt_i32 s17, 24
	s_cbranch_scc1 .LBB23_994
; %bb.975:
	s_cmp_gt_i32 s17, 24
	s_cbranch_scc0 .LBB23_983
; %bb.976:
	v_and_b32_e32 v1, 0x7fffffff, v0
	s_mov_b32 s8, 0x47800000
	v_cmp_gt_u32_e32 vcc, s8, v1
	v_mov_b32_e32 v4, 0x80
	s_and_saveexec_b64 s[8:9], vcc
	s_cbranch_execz .LBB23_982
; %bb.977:
	s_mov_b32 s10, 0x37ffffff
	v_cmp_lt_u32_e32 vcc, s10, v1
	s_mov_b64 s[10:11], 0
                                        ; implicit-def: $vgpr1
	s_and_saveexec_b64 s[12:13], vcc
	s_xor_b64 s[12:13], exec, s[12:13]
	s_cbranch_execz .LBB23_1123
; %bb.978:
	v_bfe_u32 v1, v0, 21, 1
	s_mov_b32 s14, 0x88fffff
	v_add3_u32 v1, v0, v1, s14
	s_mov_b64 s[10:11], exec
	v_lshrrev_b32_e32 v1, 21, v1
	s_andn2_saveexec_b64 s[12:13], s[12:13]
	s_cbranch_execnz .LBB23_1124
.LBB23_979:
	s_or_b64 exec, exec, s[12:13]
	v_mov_b32_e32 v4, 0
	s_and_saveexec_b64 s[12:13], s[10:11]
.LBB23_980:
	v_lshrrev_b32_e32 v4, 24, v0
	s_movk_i32 s10, 0x80
	v_and_or_b32 v4, v4, s10, v1
.LBB23_981:
	s_or_b64 exec, exec, s[12:13]
.LBB23_982:
	s_or_b64 exec, exec, s[8:9]
	s_mov_b64 s[8:9], 0
	global_store_byte v[2:3], v4, off
.LBB23_983:
	s_and_b64 vcc, exec, s[8:9]
	s_cbranch_vccz .LBB23_993
; %bb.984:
	v_and_b32_e32 v4, 0x7fffffff, v0
	s_mov_b32 s8, 0x43f00000
	v_cmp_gt_u32_e32 vcc, s8, v4
                                        ; implicit-def: $vgpr1
	s_and_saveexec_b64 s[8:9], vcc
	s_xor_b64 s[8:9], exec, s[8:9]
	s_cbranch_execz .LBB23_990
; %bb.985:
	s_mov_b32 s10, 0x3c7fffff
	v_cmp_lt_u32_e32 vcc, s10, v4
                                        ; implicit-def: $vgpr1
	s_and_saveexec_b64 s[10:11], vcc
	s_xor_b64 s[10:11], exec, s[10:11]
; %bb.986:
	v_bfe_u32 v1, v0, 20, 1
	s_mov_b32 s12, 0x407ffff
	v_add3_u32 v1, v0, v1, s12
	v_lshrrev_b32_e32 v4, 20, v1
	v_and_b32_e32 v1, 0xff00000, v1
	s_mov_b32 s12, 0x7f00000
	v_mov_b32_e32 v5, 0x7e
	v_cmp_ne_u32_e32 vcc, s12, v1
	v_cndmask_b32_e32 v1, v5, v4, vcc
; %bb.987:
	s_andn2_saveexec_b64 s[10:11], s[10:11]
; %bb.988:
	s_mov_b32 s12, 0x46800000
	v_add_f32_e64 v1, |v0|, s12
; %bb.989:
	s_or_b64 exec, exec, s[10:11]
                                        ; implicit-def: $vgpr4
.LBB23_990:
	s_andn2_saveexec_b64 s[8:9], s[8:9]
; %bb.991:
	s_mov_b32 s10, 0x7f800000
	v_mov_b32_e32 v1, 0x7e
	v_mov_b32_e32 v5, 0x7f
	v_cmp_lt_u32_e32 vcc, s10, v4
	v_cndmask_b32_e32 v1, v1, v5, vcc
; %bb.992:
	s_or_b64 exec, exec, s[8:9]
	v_lshrrev_b32_e32 v4, 24, v0
	s_movk_i32 s8, 0x80
	v_and_or_b32 v1, v4, s8, v1
	global_store_byte v[2:3], v1, off
.LBB23_993:
	s_mov_b64 s[8:9], 0
.LBB23_994:
	s_andn2_b64 vcc, exec, s[8:9]
	s_cbranch_vccnz .LBB23_1004
; %bb.995:
	v_and_b32_e32 v4, 0x7fffffff, v0
	s_mov_b32 s8, 0x47800000
	v_cmp_gt_u32_e32 vcc, s8, v4
                                        ; implicit-def: $vgpr1
	s_and_saveexec_b64 s[8:9], vcc
	s_xor_b64 s[8:9], exec, s[8:9]
	s_cbranch_execz .LBB23_1001
; %bb.996:
	s_mov_b32 s10, 0x387fffff
	v_cmp_lt_u32_e32 vcc, s10, v4
                                        ; implicit-def: $vgpr1
	s_and_saveexec_b64 s[10:11], vcc
	s_xor_b64 s[10:11], exec, s[10:11]
; %bb.997:
	v_bfe_u32 v1, v0, 21, 1
	s_mov_b32 s12, 0x80fffff
	v_add3_u32 v1, v0, v1, s12
	v_lshrrev_b32_e32 v1, 21, v1
; %bb.998:
	s_andn2_saveexec_b64 s[10:11], s[10:11]
; %bb.999:
	s_mov_b32 s12, 0x43000000
	v_add_f32_e64 v1, |v0|, s12
; %bb.1000:
	s_or_b64 exec, exec, s[10:11]
                                        ; implicit-def: $vgpr4
.LBB23_1001:
	s_andn2_saveexec_b64 s[8:9], s[8:9]
; %bb.1002:
	s_mov_b32 s10, 0x7f800000
	v_mov_b32_e32 v1, 0x7c
	v_mov_b32_e32 v5, 0x7f
	v_cmp_lt_u32_e32 vcc, s10, v4
	v_cndmask_b32_e32 v1, v1, v5, vcc
; %bb.1003:
	s_or_b64 exec, exec, s[8:9]
	v_lshrrev_b32_e32 v4, 24, v0
	s_movk_i32 s8, 0x80
	v_and_or_b32 v1, v4, s8, v1
	global_store_byte v[2:3], v1, off
.LBB23_1004:
	s_mov_b64 s[8:9], 0
.LBB23_1005:
	s_andn2_b64 vcc, exec, s[8:9]
	s_mov_b64 s[8:9], 0
	s_cbranch_vccnz .LBB23_1012
; %bb.1006:
	s_cmp_gt_i32 s17, 14
	s_mov_b64 s[10:11], -1
	s_cbranch_scc0 .LBB23_1010
; %bb.1007:
	s_cmp_eq_u32 s17, 15
	s_mov_b64 s[4:5], -1
	s_cbranch_scc0 .LBB23_1009
; %bb.1008:
	v_bfe_u32 v1, v0, 16, 1
	s_movk_i32 s4, 0x7fff
	v_add3_u32 v1, v0, v1, s4
	v_cmp_o_f32_e32 vcc, v0, v0
	v_mov_b32_e32 v4, 0x7fc0
	v_cndmask_b32_sdwa v1, v4, v1, vcc dst_sel:DWORD dst_unused:UNUSED_PAD src0_sel:DWORD src1_sel:WORD_1
	global_store_short v[2:3], v1, off
	s_mov_b64 s[4:5], 0
.LBB23_1009:
	s_mov_b64 s[10:11], 0
.LBB23_1010:
	s_and_b64 vcc, exec, s[10:11]
	s_cbranch_vccz .LBB23_1012
; %bb.1011:
	s_cmp_lg_u32 s17, 11
	s_mov_b64 s[8:9], -1
	s_cselect_b64 s[4:5], -1, 0
.LBB23_1012:
	s_and_b64 vcc, exec, s[4:5]
	s_cbranch_vccnz .LBB23_1118
.LBB23_1013:
	s_mov_b64 s[4:5], 0
	s_branch .LBB23_1054
.LBB23_1014:
	s_mov_b64 s[10:11], 0
	s_cbranch_execz .LBB23_937
; %bb.1015:
	s_and_b32 s8, 0xffff, s16
	s_cmp_lt_i32 s8, 5
	s_mov_b64 s[4:5], -1
	s_cbranch_scc1 .LBB23_1036
; %bb.1016:
	s_cmp_lt_i32 s8, 8
	s_cbranch_scc1 .LBB23_1026
; %bb.1017:
	s_cmp_lt_i32 s8, 9
	s_cbranch_scc1 .LBB23_1023
; %bb.1018:
	s_cmp_gt_i32 s8, 9
	s_cbranch_scc0 .LBB23_1020
; %bb.1019:
	v_cvt_f64_f32_e32 v[3:4], v20
	v_mov_b32_e32 v5, 0
	v_mov_b32_e32 v6, v5
	s_mov_b64 s[4:5], 0
	global_store_dwordx4 v[1:2], v[3:6], off
.LBB23_1020:
	s_andn2_b64 vcc, exec, s[4:5]
	s_cbranch_vccnz .LBB23_1022
; %bb.1021:
	v_mov_b32_e32 v21, 0
	global_store_dwordx2 v[1:2], v[20:21], off
.LBB23_1022:
	s_mov_b64 s[4:5], 0
.LBB23_1023:
	s_andn2_b64 vcc, exec, s[4:5]
	s_cbranch_vccnz .LBB23_1025
; %bb.1024:
	v_cvt_f16_f32_e32 v3, v20
	global_store_dword v[1:2], v3, off
.LBB23_1025:
	s_mov_b64 s[4:5], 0
.LBB23_1026:
	s_andn2_b64 vcc, exec, s[4:5]
	s_cbranch_vccnz .LBB23_1035
; %bb.1027:
	s_cmp_lt_i32 s8, 6
	s_mov_b64 s[4:5], -1
	s_cbranch_scc1 .LBB23_1033
; %bb.1028:
	s_cmp_gt_i32 s8, 6
	s_cbranch_scc0 .LBB23_1030
; %bb.1029:
	v_cvt_f64_f32_e32 v[3:4], v20
	s_mov_b64 s[4:5], 0
	global_store_dwordx2 v[1:2], v[3:4], off
.LBB23_1030:
	s_andn2_b64 vcc, exec, s[4:5]
	s_cbranch_vccnz .LBB23_1032
; %bb.1031:
	global_store_dword v[1:2], v20, off
.LBB23_1032:
	s_mov_b64 s[4:5], 0
.LBB23_1033:
	s_andn2_b64 vcc, exec, s[4:5]
	s_cbranch_vccnz .LBB23_1035
; %bb.1034:
	v_cvt_f16_f32_e32 v3, v20
	global_store_short v[1:2], v3, off
.LBB23_1035:
	s_mov_b64 s[4:5], 0
.LBB23_1036:
	s_andn2_b64 vcc, exec, s[4:5]
	s_cbranch_vccnz .LBB23_1052
; %bb.1037:
	s_cmp_lt_i32 s8, 2
	s_mov_b64 s[4:5], -1
	s_cbranch_scc1 .LBB23_1047
; %bb.1038:
	s_cmp_lt_i32 s8, 3
	s_cbranch_scc1 .LBB23_1044
; %bb.1039:
	s_cmp_gt_i32 s8, 3
	s_cbranch_scc0 .LBB23_1041
; %bb.1040:
	v_trunc_f32_e32 v3, v20
	s_mov_b32 s4, 0x2f800000
	v_mul_f32_e64 v4, |v3|, s4
	v_floor_f32_e32 v4, v4
	s_mov_b32 s4, 0xcf800000
	v_cvt_u32_f32_e32 v5, v4
	v_fma_f32 v4, v4, s4, |v3|
	v_cvt_u32_f32_e32 v4, v4
	v_ashrrev_i32_e32 v6, 31, v3
	v_xor_b32_e32 v5, v5, v6
	s_mov_b64 s[4:5], 0
	v_xor_b32_e32 v3, v4, v6
	v_sub_co_u32_e32 v3, vcc, v3, v6
	v_subb_co_u32_e32 v4, vcc, v5, v6, vcc
	global_store_dwordx2 v[1:2], v[3:4], off
.LBB23_1041:
	s_andn2_b64 vcc, exec, s[4:5]
	s_cbranch_vccnz .LBB23_1043
; %bb.1042:
	v_cvt_i32_f32_e32 v3, v20
	global_store_dword v[1:2], v3, off
.LBB23_1043:
	s_mov_b64 s[4:5], 0
.LBB23_1044:
	s_andn2_b64 vcc, exec, s[4:5]
	s_cbranch_vccnz .LBB23_1046
; %bb.1045:
	v_cvt_i32_f32_e32 v3, v20
	global_store_short v[1:2], v3, off
.LBB23_1046:
	s_mov_b64 s[4:5], 0
.LBB23_1047:
	s_andn2_b64 vcc, exec, s[4:5]
	s_cbranch_vccnz .LBB23_1052
; %bb.1048:
	s_cmp_gt_i32 s8, 0
	s_mov_b64 s[4:5], -1
	s_cbranch_scc0 .LBB23_1050
; %bb.1049:
	v_cvt_i32_f32_e32 v3, v20
	s_mov_b64 s[4:5], 0
	global_store_byte v[1:2], v3, off
.LBB23_1050:
	s_andn2_b64 vcc, exec, s[4:5]
	s_cbranch_vccnz .LBB23_1052
; %bb.1051:
	v_trunc_f32_e32 v3, v20
	s_mov_b32 s4, 0x2f800000
	v_mul_f32_e64 v4, |v3|, s4
	v_floor_f32_e32 v4, v4
	s_mov_b32 s4, 0xcf800000
	v_fma_f32 v4, v4, s4, |v3|
	v_cvt_u32_f32_e32 v4, v4
	v_ashrrev_i32_e32 v3, 31, v3
	v_xor_b32_e32 v4, v4, v3
	v_sub_u32_e32 v3, v4, v3
	global_store_byte v[1:2], v3, off
.LBB23_1052:
	s_branch .LBB23_938
.LBB23_1053:
	s_mov_b64 s[4:5], 0
	s_mov_b64 s[8:9], 0
                                        ; implicit-def: $sgpr16
                                        ; implicit-def: $vgpr2_vgpr3
.LBB23_1054:
	s_and_b64 s[48:49], s[8:9], exec
	s_andn2_b64 s[8:9], s[40:41], exec
	s_and_b64 s[6:7], s[6:7], exec
	s_and_b64 s[4:5], s[4:5], exec
	s_or_b64 s[40:41], s[8:9], s[6:7]
.LBB23_1055:
	s_or_b64 exec, exec, s[42:43]
	s_and_saveexec_b64 s[6:7], s[40:41]
	s_cbranch_execz .LBB23_1058
; %bb.1056:
	; divergent unreachable
	s_or_b64 exec, exec, s[6:7]
	s_and_saveexec_b64 s[6:7], s[48:49]
	s_xor_b64 s[6:7], exec, s[6:7]
	s_cbranch_execnz .LBB23_1059
.LBB23_1057:
	s_or_b64 exec, exec, s[6:7]
	s_and_saveexec_b64 s[6:7], s[4:5]
	s_cbranch_execnz .LBB23_1060
	s_branch .LBB23_1097
.LBB23_1058:
	s_or_b64 exec, exec, s[6:7]
	s_and_saveexec_b64 s[6:7], s[48:49]
	s_xor_b64 s[6:7], exec, s[6:7]
	s_cbranch_execz .LBB23_1057
.LBB23_1059:
	v_cmp_neq_f32_e32 vcc, 0, v0
	v_cndmask_b32_e64 v1, 0, 1, vcc
	global_store_byte v[2:3], v1, off
	s_or_b64 exec, exec, s[6:7]
	s_and_saveexec_b64 s[6:7], s[4:5]
	s_cbranch_execz .LBB23_1097
.LBB23_1060:
	s_sext_i32_i16 s6, s16
	s_cmp_lt_i32 s6, 5
	s_mov_b64 s[4:5], -1
	s_cbranch_scc1 .LBB23_1081
; %bb.1061:
	s_cmp_lt_i32 s6, 8
	s_cbranch_scc1 .LBB23_1071
; %bb.1062:
	s_cmp_lt_i32 s6, 9
	s_cbranch_scc1 .LBB23_1068
; %bb.1063:
	s_cmp_gt_i32 s6, 9
	s_cbranch_scc0 .LBB23_1065
; %bb.1064:
	v_cvt_f64_f32_e32 v[4:5], v0
	v_mov_b32_e32 v6, 0
	v_mov_b32_e32 v7, v6
	s_mov_b64 s[4:5], 0
	global_store_dwordx4 v[2:3], v[4:7], off
.LBB23_1065:
	s_andn2_b64 vcc, exec, s[4:5]
	s_cbranch_vccnz .LBB23_1067
; %bb.1066:
	v_mov_b32_e32 v1, 0
	global_store_dwordx2 v[2:3], v[0:1], off
.LBB23_1067:
	s_mov_b64 s[4:5], 0
.LBB23_1068:
	s_andn2_b64 vcc, exec, s[4:5]
	s_cbranch_vccnz .LBB23_1070
; %bb.1069:
	v_cvt_f16_f32_e32 v1, v0
	global_store_dword v[2:3], v1, off
.LBB23_1070:
	s_mov_b64 s[4:5], 0
.LBB23_1071:
	s_andn2_b64 vcc, exec, s[4:5]
	s_cbranch_vccnz .LBB23_1080
; %bb.1072:
	s_sext_i32_i16 s6, s16
	s_cmp_lt_i32 s6, 6
	s_mov_b64 s[4:5], -1
	s_cbranch_scc1 .LBB23_1078
; %bb.1073:
	s_cmp_gt_i32 s6, 6
	s_cbranch_scc0 .LBB23_1075
; %bb.1074:
	v_cvt_f64_f32_e32 v[4:5], v0
	s_mov_b64 s[4:5], 0
	global_store_dwordx2 v[2:3], v[4:5], off
.LBB23_1075:
	s_andn2_b64 vcc, exec, s[4:5]
	s_cbranch_vccnz .LBB23_1077
; %bb.1076:
	global_store_dword v[2:3], v0, off
.LBB23_1077:
	s_mov_b64 s[4:5], 0
.LBB23_1078:
	s_andn2_b64 vcc, exec, s[4:5]
	s_cbranch_vccnz .LBB23_1080
; %bb.1079:
	v_cvt_f16_f32_e32 v1, v0
	global_store_short v[2:3], v1, off
.LBB23_1080:
	s_mov_b64 s[4:5], 0
.LBB23_1081:
	s_andn2_b64 vcc, exec, s[4:5]
	s_cbranch_vccnz .LBB23_1097
; %bb.1082:
	s_sext_i32_i16 s6, s16
	s_cmp_lt_i32 s6, 2
	s_mov_b64 s[4:5], -1
	s_cbranch_scc1 .LBB23_1092
; %bb.1083:
	s_cmp_lt_i32 s6, 3
	s_cbranch_scc1 .LBB23_1089
; %bb.1084:
	s_cmp_gt_i32 s6, 3
	s_cbranch_scc0 .LBB23_1086
; %bb.1085:
	v_trunc_f32_e32 v1, v0
	s_mov_b32 s4, 0x2f800000
	v_mul_f32_e64 v4, |v1|, s4
	v_floor_f32_e32 v4, v4
	s_mov_b32 s4, 0xcf800000
	v_cvt_u32_f32_e32 v5, v4
	v_fma_f32 v4, v4, s4, |v1|
	v_cvt_u32_f32_e32 v4, v4
	v_ashrrev_i32_e32 v1, 31, v1
	v_xor_b32_e32 v5, v5, v1
	s_mov_b64 s[4:5], 0
	v_xor_b32_e32 v4, v4, v1
	v_sub_co_u32_e32 v4, vcc, v4, v1
	v_subb_co_u32_e32 v5, vcc, v5, v1, vcc
	global_store_dwordx2 v[2:3], v[4:5], off
.LBB23_1086:
	s_andn2_b64 vcc, exec, s[4:5]
	s_cbranch_vccnz .LBB23_1088
; %bb.1087:
	v_cvt_i32_f32_e32 v1, v0
	global_store_dword v[2:3], v1, off
.LBB23_1088:
	s_mov_b64 s[4:5], 0
.LBB23_1089:
	s_andn2_b64 vcc, exec, s[4:5]
	s_cbranch_vccnz .LBB23_1091
; %bb.1090:
	v_cvt_i32_f32_e32 v1, v0
	global_store_short v[2:3], v1, off
.LBB23_1091:
	s_mov_b64 s[4:5], 0
.LBB23_1092:
	s_andn2_b64 vcc, exec, s[4:5]
	s_cbranch_vccnz .LBB23_1097
; %bb.1093:
	s_sext_i32_i16 s4, s16
	s_cmp_gt_i32 s4, 0
	s_mov_b64 s[4:5], -1
	s_cbranch_scc0 .LBB23_1095
; %bb.1094:
	v_cvt_i32_f32_e32 v1, v0
	s_mov_b64 s[4:5], 0
	global_store_byte v[2:3], v1, off
.LBB23_1095:
	s_andn2_b64 vcc, exec, s[4:5]
	s_cbranch_vccnz .LBB23_1097
; %bb.1096:
	v_trunc_f32_e32 v0, v0
	s_mov_b32 s4, 0x2f800000
	v_mul_f32_e64 v1, |v0|, s4
	v_floor_f32_e32 v1, v1
	s_mov_b32 s4, 0xcf800000
	v_fma_f32 v1, v1, s4, |v0|
	v_cvt_u32_f32_e32 v1, v1
	v_ashrrev_i32_e32 v0, 31, v0
	v_xor_b32_e32 v1, v1, v0
	v_sub_u32_e32 v0, v1, v0
	global_store_byte v[2:3], v0, off
	s_endpgm
.LBB23_1097:
	s_endpgm
.LBB23_1098:
	s_mov_b64 s[8:9], 0
	s_mov_b64 s[4:5], -1
	s_branch .LBB23_1054
.LBB23_1099:
	s_andn2_saveexec_b64 s[12:13], s[12:13]
	s_cbranch_execz .LBB23_651
.LBB23_1100:
	s_mov_b32 s16, 0x46000000
	v_add_f32_e64 v3, |v22|, s16
	v_and_b32_e32 v3, 0xff, v3
	v_cmp_ne_u32_e32 vcc, 0, v3
	s_andn2_b64 s[10:11], s[10:11], exec
	s_and_b64 s[16:17], vcc, exec
	s_or_b64 s[10:11], s[10:11], s[16:17]
	s_or_b64 exec, exec, s[12:13]
	v_mov_b32_e32 v4, 0
	s_and_saveexec_b64 s[12:13], s[10:11]
	s_cbranch_execnz .LBB23_652
	s_branch .LBB23_653
.LBB23_1101:
	s_or_b64 s[6:7], s[40:41], exec
	s_trap 2
	s_cbranch_execz .LBB23_699
	s_branch .LBB23_700
.LBB23_1102:
	s_andn2_saveexec_b64 s[10:11], s[10:11]
	s_cbranch_execz .LBB23_664
.LBB23_1103:
	s_mov_b32 s12, 0x42800000
	v_add_f32_e64 v3, |v22|, s12
	v_and_b32_e32 v3, 0xff, v3
	v_cmp_ne_u32_e32 vcc, 0, v3
	s_andn2_b64 s[8:9], s[8:9], exec
	s_and_b64 s[12:13], vcc, exec
	s_or_b64 s[8:9], s[8:9], s[12:13]
	s_or_b64 exec, exec, s[10:11]
	v_mov_b32_e32 v4, 0
	s_and_saveexec_b64 s[10:11], s[8:9]
	s_cbranch_execnz .LBB23_665
	s_branch .LBB23_666
.LBB23_1104:
	s_andn2_saveexec_b64 s[14:15], s[14:15]
	s_cbranch_execz .LBB23_769
.LBB23_1105:
	s_mov_b32 s18, 0x46000000
	v_add_f32_e64 v3, |v21|, s18
	v_and_b32_e32 v3, 0xff, v3
	v_cmp_ne_u32_e32 vcc, 0, v3
	s_andn2_b64 s[12:13], s[12:13], exec
	s_and_b64 s[18:19], vcc, exec
	s_or_b64 s[12:13], s[12:13], s[18:19]
	s_or_b64 exec, exec, s[14:15]
	v_mov_b32_e32 v4, 0
	s_and_saveexec_b64 s[14:15], s[12:13]
	s_cbranch_execnz .LBB23_770
	s_branch .LBB23_771
.LBB23_1106:
	s_trap 2
	s_or_b64 s[6:7], s[6:7], exec
	s_cbranch_execz .LBB23_817
	s_branch .LBB23_818
.LBB23_1107:
	s_andn2_saveexec_b64 s[12:13], s[12:13]
	s_cbranch_execz .LBB23_782
.LBB23_1108:
	s_mov_b32 s14, 0x42800000
	v_add_f32_e64 v3, |v21|, s14
	v_and_b32_e32 v3, 0xff, v3
	v_cmp_ne_u32_e32 vcc, 0, v3
	s_andn2_b64 s[10:11], s[10:11], exec
	s_and_b64 s[14:15], vcc, exec
	s_or_b64 s[10:11], s[10:11], s[14:15]
	s_or_b64 exec, exec, s[12:13]
	v_mov_b32_e32 v4, 0
	s_and_saveexec_b64 s[12:13], s[10:11]
	s_cbranch_execnz .LBB23_783
	s_branch .LBB23_784
.LBB23_1109:
	s_andn2_saveexec_b64 s[14:15], s[14:15]
	s_cbranch_execz .LBB23_887
.LBB23_1110:
	s_mov_b32 s18, 0x46000000
	v_add_f32_e64 v3, |v20|, s18
	v_and_b32_e32 v3, 0xff, v3
	v_cmp_ne_u32_e32 vcc, 0, v3
	s_andn2_b64 s[12:13], s[12:13], exec
	s_and_b64 s[18:19], vcc, exec
	s_or_b64 s[12:13], s[12:13], s[18:19]
	s_or_b64 exec, exec, s[14:15]
	v_mov_b32_e32 v4, 0
	s_and_saveexec_b64 s[14:15], s[12:13]
	s_cbranch_execnz .LBB23_888
	s_branch .LBB23_889
.LBB23_1111:
	s_trap 2
	s_or_b64 s[6:7], s[6:7], exec
	s_cbranch_execz .LBB23_935
	s_branch .LBB23_936
.LBB23_1112:
	s_andn2_saveexec_b64 s[10:11], s[10:11]
	s_cbranch_execz .LBB23_338
.LBB23_1113:
	s_mov_b32 s14, 0x46000000
	v_add_f32_e64 v1, |v0|, s14
	v_and_b32_e32 v1, 0xff, v1
	v_cmp_ne_u32_e32 vcc, 0, v1
	s_andn2_b64 s[8:9], s[8:9], exec
	s_and_b64 s[14:15], vcc, exec
	s_or_b64 s[8:9], s[8:9], s[14:15]
	s_or_b64 exec, exec, s[10:11]
	v_mov_b32_e32 v4, 0
	s_and_saveexec_b64 s[10:11], s[8:9]
	s_cbranch_execnz .LBB23_339
	s_branch .LBB23_340
.LBB23_1114:
	s_andn2_saveexec_b64 s[12:13], s[12:13]
	s_cbranch_execz .LBB23_900
.LBB23_1115:
	s_mov_b32 s14, 0x42800000
	v_add_f32_e64 v3, |v20|, s14
	v_and_b32_e32 v3, 0xff, v3
	v_cmp_ne_u32_e32 vcc, 0, v3
	s_andn2_b64 s[10:11], s[10:11], exec
	s_and_b64 s[14:15], vcc, exec
	s_or_b64 s[10:11], s[10:11], s[14:15]
	s_or_b64 exec, exec, s[12:13]
	v_mov_b32_e32 v4, 0
	s_and_saveexec_b64 s[12:13], s[10:11]
	s_cbranch_execnz .LBB23_901
	s_branch .LBB23_902
.LBB23_1116:
	s_andn2_saveexec_b64 s[14:15], s[14:15]
	s_cbranch_execz .LBB23_967
.LBB23_1117:
	s_mov_b32 s18, 0x46000000
	v_add_f32_e64 v1, |v0|, s18
	v_and_b32_e32 v1, 0xff, v1
	v_cmp_ne_u32_e32 vcc, 0, v1
	s_andn2_b64 s[12:13], s[12:13], exec
	s_and_b64 s[18:19], vcc, exec
	s_or_b64 s[12:13], s[12:13], s[18:19]
	s_or_b64 exec, exec, s[14:15]
	v_mov_b32_e32 v4, 0
	s_and_saveexec_b64 s[14:15], s[12:13]
	s_cbranch_execnz .LBB23_968
	s_branch .LBB23_969
.LBB23_1118:
	s_mov_b64 s[8:9], 0
	s_or_b64 s[6:7], s[6:7], exec
	s_trap 2
	s_branch .LBB23_1013
.LBB23_1119:
	s_andn2_saveexec_b64 s[10:11], s[10:11]
	s_cbranch_execz .LBB23_351
.LBB23_1120:
	s_mov_b32 s14, 0x42800000
	v_add_f32_e64 v1, |v0|, s14
	v_and_b32_e32 v1, 0xff, v1
	v_cmp_ne_u32_e32 vcc, 0, v1
	s_andn2_b64 s[8:9], s[8:9], exec
	s_and_b64 s[14:15], vcc, exec
	s_or_b64 s[8:9], s[8:9], s[14:15]
	s_or_b64 exec, exec, s[10:11]
	v_mov_b32_e32 v4, 0
	s_and_saveexec_b64 s[10:11], s[8:9]
	s_cbranch_execnz .LBB23_352
	s_branch .LBB23_353
.LBB23_1121:
	s_andn2_saveexec_b64 s[10:11], s[10:11]
	s_cbranch_execz .LBB23_476
.LBB23_1122:
	s_mov_b32 s12, 0x46000000
	v_add_f32_e64 v1, |v0|, s12
	v_and_b32_e32 v1, 0xff, v1
	v_cmp_ne_u32_e32 vcc, 0, v1
	s_andn2_b64 s[8:9], s[8:9], exec
	s_and_b64 s[12:13], vcc, exec
	s_or_b64 s[8:9], s[8:9], s[12:13]
	s_or_b64 exec, exec, s[10:11]
	v_mov_b32_e32 v4, 0
	s_and_saveexec_b64 s[10:11], s[8:9]
	s_cbranch_execnz .LBB23_477
	s_branch .LBB23_478
.LBB23_1123:
	s_andn2_saveexec_b64 s[12:13], s[12:13]
	s_cbranch_execz .LBB23_979
.LBB23_1124:
	s_mov_b32 s14, 0x42800000
	v_add_f32_e64 v1, |v0|, s14
	v_and_b32_e32 v1, 0xff, v1
	v_cmp_ne_u32_e32 vcc, 0, v1
	s_andn2_b64 s[10:11], s[10:11], exec
	s_and_b64 s[14:15], vcc, exec
	s_or_b64 s[10:11], s[10:11], s[14:15]
	s_or_b64 exec, exec, s[12:13]
	v_mov_b32_e32 v4, 0
	s_and_saveexec_b64 s[12:13], s[10:11]
	s_cbranch_execnz .LBB23_980
	s_branch .LBB23_981
.LBB23_1125:
	s_andn2_saveexec_b64 s[12:13], s[12:13]
	s_cbranch_execz .LBB23_488
.LBB23_1126:
	s_mov_b32 s16, 0x42800000
	v_add_f32_e64 v1, |v0|, s16
	v_and_b32_e32 v1, 0xff, v1
	v_cmp_ne_u32_e32 vcc, 0, v1
	s_andn2_b64 s[10:11], s[10:11], exec
	s_and_b64 s[16:17], vcc, exec
	s_or_b64 s[10:11], s[10:11], s[16:17]
	s_or_b64 exec, exec, s[12:13]
	v_mov_b32_e32 v4, 0
	s_and_saveexec_b64 s[12:13], s[10:11]
	s_cbranch_execnz .LBB23_489
	s_branch .LBB23_490
	.section	.rodata,"a",@progbits
	.p2align	6, 0x0
	.amdhsa_kernel _ZN2at6native32elementwise_kernel_manual_unrollILi128ELi4EZNS0_15gpu_kernel_implIZZZNS0_12_GLOBAL__N_121bessel_y0_kernel_cudaERNS_18TensorIteratorBaseEENKUlvE_clEvENKUlvE0_clEvEUlfE_EEvS5_RKT_EUlibE0_EEviT1_
		.amdhsa_group_segment_fixed_size 0
		.amdhsa_private_segment_fixed_size 0
		.amdhsa_kernarg_size 360
		.amdhsa_user_sgpr_count 6
		.amdhsa_user_sgpr_private_segment_buffer 1
		.amdhsa_user_sgpr_dispatch_ptr 0
		.amdhsa_user_sgpr_queue_ptr 0
		.amdhsa_user_sgpr_kernarg_segment_ptr 1
		.amdhsa_user_sgpr_dispatch_id 0
		.amdhsa_user_sgpr_flat_scratch_init 0
		.amdhsa_user_sgpr_private_segment_size 0
		.amdhsa_uses_dynamic_stack 0
		.amdhsa_system_sgpr_private_segment_wavefront_offset 0
		.amdhsa_system_sgpr_workgroup_id_x 1
		.amdhsa_system_sgpr_workgroup_id_y 0
		.amdhsa_system_sgpr_workgroup_id_z 0
		.amdhsa_system_sgpr_workgroup_info 0
		.amdhsa_system_vgpr_workitem_id 0
		.amdhsa_next_free_vgpr 34
		.amdhsa_next_free_sgpr 79
		.amdhsa_reserve_vcc 1
		.amdhsa_reserve_flat_scratch 0
		.amdhsa_float_round_mode_32 0
		.amdhsa_float_round_mode_16_64 0
		.amdhsa_float_denorm_mode_32 3
		.amdhsa_float_denorm_mode_16_64 3
		.amdhsa_dx10_clamp 1
		.amdhsa_ieee_mode 1
		.amdhsa_fp16_overflow 0
		.amdhsa_exception_fp_ieee_invalid_op 0
		.amdhsa_exception_fp_denorm_src 0
		.amdhsa_exception_fp_ieee_div_zero 0
		.amdhsa_exception_fp_ieee_overflow 0
		.amdhsa_exception_fp_ieee_underflow 0
		.amdhsa_exception_fp_ieee_inexact 0
		.amdhsa_exception_int_div_zero 0
	.end_amdhsa_kernel
	.section	.text._ZN2at6native32elementwise_kernel_manual_unrollILi128ELi4EZNS0_15gpu_kernel_implIZZZNS0_12_GLOBAL__N_121bessel_y0_kernel_cudaERNS_18TensorIteratorBaseEENKUlvE_clEvENKUlvE0_clEvEUlfE_EEvS5_RKT_EUlibE0_EEviT1_,"axG",@progbits,_ZN2at6native32elementwise_kernel_manual_unrollILi128ELi4EZNS0_15gpu_kernel_implIZZZNS0_12_GLOBAL__N_121bessel_y0_kernel_cudaERNS_18TensorIteratorBaseEENKUlvE_clEvENKUlvE0_clEvEUlfE_EEvS5_RKT_EUlibE0_EEviT1_,comdat
.Lfunc_end23:
	.size	_ZN2at6native32elementwise_kernel_manual_unrollILi128ELi4EZNS0_15gpu_kernel_implIZZZNS0_12_GLOBAL__N_121bessel_y0_kernel_cudaERNS_18TensorIteratorBaseEENKUlvE_clEvENKUlvE0_clEvEUlfE_EEvS5_RKT_EUlibE0_EEviT1_, .Lfunc_end23-_ZN2at6native32elementwise_kernel_manual_unrollILi128ELi4EZNS0_15gpu_kernel_implIZZZNS0_12_GLOBAL__N_121bessel_y0_kernel_cudaERNS_18TensorIteratorBaseEENKUlvE_clEvENKUlvE0_clEvEUlfE_EEvS5_RKT_EUlibE0_EEviT1_
                                        ; -- End function
	.set _ZN2at6native32elementwise_kernel_manual_unrollILi128ELi4EZNS0_15gpu_kernel_implIZZZNS0_12_GLOBAL__N_121bessel_y0_kernel_cudaERNS_18TensorIteratorBaseEENKUlvE_clEvENKUlvE0_clEvEUlfE_EEvS5_RKT_EUlibE0_EEviT1_.num_vgpr, max(34, .L_ZN2at6native6invokeIZZZNS0_12_GLOBAL__N_121bessel_y0_kernel_cudaERNS_18TensorIteratorBaseEENKUlvE_clEvENKUlvE0_clEvEUlfE_j15function_traitsIS7_EEENT1_11result_typeERKT_PrKPcPKT0_PKN3c1010ScalarTypeEi.num_vgpr)
	.set _ZN2at6native32elementwise_kernel_manual_unrollILi128ELi4EZNS0_15gpu_kernel_implIZZZNS0_12_GLOBAL__N_121bessel_y0_kernel_cudaERNS_18TensorIteratorBaseEENKUlvE_clEvENKUlvE0_clEvEUlfE_EEvS5_RKT_EUlibE0_EEviT1_.num_agpr, max(0, .L_ZN2at6native6invokeIZZZNS0_12_GLOBAL__N_121bessel_y0_kernel_cudaERNS_18TensorIteratorBaseEENKUlvE_clEvENKUlvE0_clEvEUlfE_j15function_traitsIS7_EEENT1_11result_typeERKT_PrKPcPKT0_PKN3c1010ScalarTypeEi.num_agpr)
	.set _ZN2at6native32elementwise_kernel_manual_unrollILi128ELi4EZNS0_15gpu_kernel_implIZZZNS0_12_GLOBAL__N_121bessel_y0_kernel_cudaERNS_18TensorIteratorBaseEENKUlvE_clEvENKUlvE0_clEvEUlfE_EEvS5_RKT_EUlibE0_EEviT1_.numbered_sgpr, max(79, .L_ZN2at6native6invokeIZZZNS0_12_GLOBAL__N_121bessel_y0_kernel_cudaERNS_18TensorIteratorBaseEENKUlvE_clEvENKUlvE0_clEvEUlfE_j15function_traitsIS7_EEENT1_11result_typeERKT_PrKPcPKT0_PKN3c1010ScalarTypeEi.numbered_sgpr)
	.set _ZN2at6native32elementwise_kernel_manual_unrollILi128ELi4EZNS0_15gpu_kernel_implIZZZNS0_12_GLOBAL__N_121bessel_y0_kernel_cudaERNS_18TensorIteratorBaseEENKUlvE_clEvENKUlvE0_clEvEUlfE_EEvS5_RKT_EUlibE0_EEviT1_.num_named_barrier, max(0, .L_ZN2at6native6invokeIZZZNS0_12_GLOBAL__N_121bessel_y0_kernel_cudaERNS_18TensorIteratorBaseEENKUlvE_clEvENKUlvE0_clEvEUlfE_j15function_traitsIS7_EEENT1_11result_typeERKT_PrKPcPKT0_PKN3c1010ScalarTypeEi.num_named_barrier)
	.set _ZN2at6native32elementwise_kernel_manual_unrollILi128ELi4EZNS0_15gpu_kernel_implIZZZNS0_12_GLOBAL__N_121bessel_y0_kernel_cudaERNS_18TensorIteratorBaseEENKUlvE_clEvENKUlvE0_clEvEUlfE_EEvS5_RKT_EUlibE0_EEviT1_.private_seg_size, 0+max(.L_ZN2at6native6invokeIZZZNS0_12_GLOBAL__N_121bessel_y0_kernel_cudaERNS_18TensorIteratorBaseEENKUlvE_clEvENKUlvE0_clEvEUlfE_j15function_traitsIS7_EEENT1_11result_typeERKT_PrKPcPKT0_PKN3c1010ScalarTypeEi.private_seg_size)
	.set _ZN2at6native32elementwise_kernel_manual_unrollILi128ELi4EZNS0_15gpu_kernel_implIZZZNS0_12_GLOBAL__N_121bessel_y0_kernel_cudaERNS_18TensorIteratorBaseEENKUlvE_clEvENKUlvE0_clEvEUlfE_EEvS5_RKT_EUlibE0_EEviT1_.uses_vcc, or(1, .L_ZN2at6native6invokeIZZZNS0_12_GLOBAL__N_121bessel_y0_kernel_cudaERNS_18TensorIteratorBaseEENKUlvE_clEvENKUlvE0_clEvEUlfE_j15function_traitsIS7_EEENT1_11result_typeERKT_PrKPcPKT0_PKN3c1010ScalarTypeEi.uses_vcc)
	.set _ZN2at6native32elementwise_kernel_manual_unrollILi128ELi4EZNS0_15gpu_kernel_implIZZZNS0_12_GLOBAL__N_121bessel_y0_kernel_cudaERNS_18TensorIteratorBaseEENKUlvE_clEvENKUlvE0_clEvEUlfE_EEvS5_RKT_EUlibE0_EEviT1_.uses_flat_scratch, or(0, .L_ZN2at6native6invokeIZZZNS0_12_GLOBAL__N_121bessel_y0_kernel_cudaERNS_18TensorIteratorBaseEENKUlvE_clEvENKUlvE0_clEvEUlfE_j15function_traitsIS7_EEENT1_11result_typeERKT_PrKPcPKT0_PKN3c1010ScalarTypeEi.uses_flat_scratch)
	.set _ZN2at6native32elementwise_kernel_manual_unrollILi128ELi4EZNS0_15gpu_kernel_implIZZZNS0_12_GLOBAL__N_121bessel_y0_kernel_cudaERNS_18TensorIteratorBaseEENKUlvE_clEvENKUlvE0_clEvEUlfE_EEvS5_RKT_EUlibE0_EEviT1_.has_dyn_sized_stack, or(0, .L_ZN2at6native6invokeIZZZNS0_12_GLOBAL__N_121bessel_y0_kernel_cudaERNS_18TensorIteratorBaseEENKUlvE_clEvENKUlvE0_clEvEUlfE_j15function_traitsIS7_EEENT1_11result_typeERKT_PrKPcPKT0_PKN3c1010ScalarTypeEi.has_dyn_sized_stack)
	.set _ZN2at6native32elementwise_kernel_manual_unrollILi128ELi4EZNS0_15gpu_kernel_implIZZZNS0_12_GLOBAL__N_121bessel_y0_kernel_cudaERNS_18TensorIteratorBaseEENKUlvE_clEvENKUlvE0_clEvEUlfE_EEvS5_RKT_EUlibE0_EEviT1_.has_recursion, or(0, .L_ZN2at6native6invokeIZZZNS0_12_GLOBAL__N_121bessel_y0_kernel_cudaERNS_18TensorIteratorBaseEENKUlvE_clEvENKUlvE0_clEvEUlfE_j15function_traitsIS7_EEENT1_11result_typeERKT_PrKPcPKT0_PKN3c1010ScalarTypeEi.has_recursion)
	.set _ZN2at6native32elementwise_kernel_manual_unrollILi128ELi4EZNS0_15gpu_kernel_implIZZZNS0_12_GLOBAL__N_121bessel_y0_kernel_cudaERNS_18TensorIteratorBaseEENKUlvE_clEvENKUlvE0_clEvEUlfE_EEvS5_RKT_EUlibE0_EEviT1_.has_indirect_call, or(0, .L_ZN2at6native6invokeIZZZNS0_12_GLOBAL__N_121bessel_y0_kernel_cudaERNS_18TensorIteratorBaseEENKUlvE_clEvENKUlvE0_clEvEUlfE_j15function_traitsIS7_EEENT1_11result_typeERKT_PrKPcPKT0_PKN3c1010ScalarTypeEi.has_indirect_call)
	.section	.AMDGPU.csdata,"",@progbits
; Kernel info:
; codeLenInByte = 22120
; TotalNumSgprs: 83
; NumVgprs: 34
; ScratchSize: 0
; MemoryBound: 0
; FloatMode: 240
; IeeeMode: 1
; LDSByteSize: 0 bytes/workgroup (compile time only)
; SGPRBlocks: 10
; VGPRBlocks: 8
; NumSGPRsForWavesPerEU: 83
; NumVGPRsForWavesPerEU: 34
; Occupancy: 7
; WaveLimiterHint : 1
; COMPUTE_PGM_RSRC2:SCRATCH_EN: 0
; COMPUTE_PGM_RSRC2:USER_SGPR: 6
; COMPUTE_PGM_RSRC2:TRAP_HANDLER: 0
; COMPUTE_PGM_RSRC2:TGID_X_EN: 1
; COMPUTE_PGM_RSRC2:TGID_Y_EN: 0
; COMPUTE_PGM_RSRC2:TGID_Z_EN: 0
; COMPUTE_PGM_RSRC2:TIDIG_COMP_CNT: 0
	.section	.AMDGPU.gpr_maximums,"",@progbits
	.set amdgpu.max_num_vgpr, 82
	.set amdgpu.max_num_agpr, 0
	.set amdgpu.max_num_sgpr, 58
	.section	.AMDGPU.csdata,"",@progbits
	.type	__hip_cuid_41fc8c83e1aecc3b,@object ; @__hip_cuid_41fc8c83e1aecc3b
	.section	.bss,"aw",@nobits
	.globl	__hip_cuid_41fc8c83e1aecc3b
__hip_cuid_41fc8c83e1aecc3b:
	.byte	0                               ; 0x0
	.size	__hip_cuid_41fc8c83e1aecc3b, 1

	.ident	"AMD clang version 22.0.0git (https://github.com/RadeonOpenCompute/llvm-project roc-7.2.4 26084 f58b06dce1f9c15707c5f808fd002e18c2accf7e)"
	.section	".note.GNU-stack","",@progbits
	.addrsig
	.addrsig_sym __hip_cuid_41fc8c83e1aecc3b
	.amdgpu_metadata
---
amdhsa.kernels:
  - .args:
      - .offset:         0
        .size:           4
        .value_kind:     by_value
      - .offset:         4
        .size:           1
        .value_kind:     by_value
      - .offset:         8
        .size:           16
        .value_kind:     by_value
    .group_segment_fixed_size: 0
    .kernarg_segment_align: 8
    .kernarg_segment_size: 24
    .language:       OpenCL C
    .language_version:
      - 2
      - 0
    .max_flat_workgroup_size: 256
    .name:           _ZN2at6native29vectorized_elementwise_kernelILi16EZZZNS0_12_GLOBAL__N_121bessel_y0_kernel_cudaERNS_18TensorIteratorBaseEENKUlvE_clEvENKUlvE_clEvEUldE_St5arrayIPcLm2EEEEviT0_T1_
    .private_segment_fixed_size: 0
    .sgpr_count:     52
    .sgpr_spill_count: 0
    .symbol:         _ZN2at6native29vectorized_elementwise_kernelILi16EZZZNS0_12_GLOBAL__N_121bessel_y0_kernel_cudaERNS_18TensorIteratorBaseEENKUlvE_clEvENKUlvE_clEvEUldE_St5arrayIPcLm2EEEEviT0_T1_.kd
    .uniform_work_group_size: 1
    .uses_dynamic_stack: false
    .vgpr_count:     82
    .vgpr_spill_count: 0
    .wavefront_size: 64
  - .args:
      - .offset:         0
        .size:           4
        .value_kind:     by_value
      - .offset:         4
        .size:           1
        .value_kind:     by_value
      - .offset:         8
        .size:           16
        .value_kind:     by_value
    .group_segment_fixed_size: 0
    .kernarg_segment_align: 8
    .kernarg_segment_size: 24
    .language:       OpenCL C
    .language_version:
      - 2
      - 0
    .max_flat_workgroup_size: 256
    .name:           _ZN2at6native29vectorized_elementwise_kernelILi8EZZZNS0_12_GLOBAL__N_121bessel_y0_kernel_cudaERNS_18TensorIteratorBaseEENKUlvE_clEvENKUlvE_clEvEUldE_St5arrayIPcLm2EEEEviT0_T1_
    .private_segment_fixed_size: 0
    .sgpr_count:     52
    .sgpr_spill_count: 0
    .symbol:         _ZN2at6native29vectorized_elementwise_kernelILi8EZZZNS0_12_GLOBAL__N_121bessel_y0_kernel_cudaERNS_18TensorIteratorBaseEENKUlvE_clEvENKUlvE_clEvEUldE_St5arrayIPcLm2EEEEviT0_T1_.kd
    .uniform_work_group_size: 1
    .uses_dynamic_stack: false
    .vgpr_count:     82
    .vgpr_spill_count: 0
    .wavefront_size: 64
  - .args:
      - .offset:         0
        .size:           4
        .value_kind:     by_value
      - .offset:         4
        .size:           1
        .value_kind:     by_value
      - .offset:         8
        .size:           16
        .value_kind:     by_value
    .group_segment_fixed_size: 0
    .kernarg_segment_align: 8
    .kernarg_segment_size: 24
    .language:       OpenCL C
    .language_version:
      - 2
      - 0
    .max_flat_workgroup_size: 256
    .name:           _ZN2at6native29vectorized_elementwise_kernelILi4EZZZNS0_12_GLOBAL__N_121bessel_y0_kernel_cudaERNS_18TensorIteratorBaseEENKUlvE_clEvENKUlvE_clEvEUldE_St5arrayIPcLm2EEEEviT0_T1_
    .private_segment_fixed_size: 0
    .sgpr_count:     52
    .sgpr_spill_count: 0
    .symbol:         _ZN2at6native29vectorized_elementwise_kernelILi4EZZZNS0_12_GLOBAL__N_121bessel_y0_kernel_cudaERNS_18TensorIteratorBaseEENKUlvE_clEvENKUlvE_clEvEUldE_St5arrayIPcLm2EEEEviT0_T1_.kd
    .uniform_work_group_size: 1
    .uses_dynamic_stack: false
    .vgpr_count:     82
    .vgpr_spill_count: 0
    .wavefront_size: 64
  - .args:
      - .offset:         0
        .size:           4
        .value_kind:     by_value
      - .offset:         4
        .size:           1
        .value_kind:     by_value
      - .offset:         8
        .size:           16
        .value_kind:     by_value
    .group_segment_fixed_size: 0
    .kernarg_segment_align: 8
    .kernarg_segment_size: 24
    .language:       OpenCL C
    .language_version:
      - 2
      - 0
    .max_flat_workgroup_size: 256
    .name:           _ZN2at6native29vectorized_elementwise_kernelILi2EZZZNS0_12_GLOBAL__N_121bessel_y0_kernel_cudaERNS_18TensorIteratorBaseEENKUlvE_clEvENKUlvE_clEvEUldE_St5arrayIPcLm2EEEEviT0_T1_
    .private_segment_fixed_size: 0
    .sgpr_count:     52
    .sgpr_spill_count: 0
    .symbol:         _ZN2at6native29vectorized_elementwise_kernelILi2EZZZNS0_12_GLOBAL__N_121bessel_y0_kernel_cudaERNS_18TensorIteratorBaseEENKUlvE_clEvENKUlvE_clEvEUldE_St5arrayIPcLm2EEEEviT0_T1_.kd
    .uniform_work_group_size: 1
    .uses_dynamic_stack: false
    .vgpr_count:     82
    .vgpr_spill_count: 0
    .wavefront_size: 64
  - .args:
      - .offset:         0
        .size:           4
        .value_kind:     by_value
      - .offset:         4
        .size:           1
        .value_kind:     by_value
      - .offset:         8
        .size:           16
        .value_kind:     by_value
      - .offset:         24
        .size:           1
        .value_kind:     by_value
      - .offset:         25
        .size:           1
        .value_kind:     by_value
      - .offset:         26
        .size:           1
        .value_kind:     by_value
      - .offset:         27
        .size:           1
        .value_kind:     by_value
    .group_segment_fixed_size: 0
    .kernarg_segment_align: 8
    .kernarg_segment_size: 28
    .language:       OpenCL C
    .language_version:
      - 2
      - 0
    .max_flat_workgroup_size: 256
    .name:           _ZN2at6native27unrolled_elementwise_kernelIZZZNS0_12_GLOBAL__N_121bessel_y0_kernel_cudaERNS_18TensorIteratorBaseEENKUlvE_clEvENKUlvE_clEvEUldE_St5arrayIPcLm2EELi4E23TrivialOffsetCalculatorILi1EjESC_NS0_6memory15LoadWithoutCastENSD_16StoreWithoutCastEEEviT_T0_T2_T3_T4_T5_
    .private_segment_fixed_size: 0
    .sgpr_count:     52
    .sgpr_spill_count: 0
    .symbol:         _ZN2at6native27unrolled_elementwise_kernelIZZZNS0_12_GLOBAL__N_121bessel_y0_kernel_cudaERNS_18TensorIteratorBaseEENKUlvE_clEvENKUlvE_clEvEUldE_St5arrayIPcLm2EELi4E23TrivialOffsetCalculatorILi1EjESC_NS0_6memory15LoadWithoutCastENSD_16StoreWithoutCastEEEviT_T0_T2_T3_T4_T5_.kd
    .uniform_work_group_size: 1
    .uses_dynamic_stack: false
    .vgpr_count:     82
    .vgpr_spill_count: 0
    .wavefront_size: 64
  - .args:
      - .offset:         0
        .size:           4
        .value_kind:     by_value
      - .offset:         8
        .size:           352
        .value_kind:     by_value
    .group_segment_fixed_size: 0
    .kernarg_segment_align: 8
    .kernarg_segment_size: 360
    .language:       OpenCL C
    .language_version:
      - 2
      - 0
    .max_flat_workgroup_size: 128
    .name:           _ZN2at6native32elementwise_kernel_manual_unrollILi128ELi4EZNS0_22gpu_kernel_impl_nocastIZZZNS0_12_GLOBAL__N_121bessel_y0_kernel_cudaERNS_18TensorIteratorBaseEENKUlvE_clEvENKUlvE_clEvEUldE_EEvS5_RKT_EUlibE_EEviT1_
    .private_segment_fixed_size: 0
    .sgpr_count:     66
    .sgpr_spill_count: 0
    .symbol:         _ZN2at6native32elementwise_kernel_manual_unrollILi128ELi4EZNS0_22gpu_kernel_impl_nocastIZZZNS0_12_GLOBAL__N_121bessel_y0_kernel_cudaERNS_18TensorIteratorBaseEENKUlvE_clEvENKUlvE_clEvEUldE_EEvS5_RKT_EUlibE_EEviT1_.kd
    .uniform_work_group_size: 1
    .uses_dynamic_stack: false
    .vgpr_count:     63
    .vgpr_spill_count: 0
    .wavefront_size: 64
  - .args:
      - .offset:         0
        .size:           4
        .value_kind:     by_value
      - .offset:         8
        .size:           32
        .value_kind:     by_value
    .group_segment_fixed_size: 0
    .kernarg_segment_align: 8
    .kernarg_segment_size: 40
    .language:       OpenCL C
    .language_version:
      - 2
      - 0
    .max_flat_workgroup_size: 128
    .name:           _ZN2at6native32elementwise_kernel_manual_unrollILi128ELi4EZNS0_15gpu_kernel_implIZZZNS0_12_GLOBAL__N_121bessel_y0_kernel_cudaERNS_18TensorIteratorBaseEENKUlvE_clEvENKUlvE_clEvEUldE_EEvS5_RKT_EUlibE_EEviT1_
    .private_segment_fixed_size: 124
    .sgpr_count:     72
    .sgpr_spill_count: 0
    .symbol:         _ZN2at6native32elementwise_kernel_manual_unrollILi128ELi4EZNS0_15gpu_kernel_implIZZZNS0_12_GLOBAL__N_121bessel_y0_kernel_cudaERNS_18TensorIteratorBaseEENKUlvE_clEvENKUlvE_clEvEUldE_EEvS5_RKT_EUlibE_EEviT1_.kd
    .uniform_work_group_size: 1
    .uses_dynamic_stack: false
    .vgpr_count:     62
    .vgpr_spill_count: 20
    .wavefront_size: 64
  - .args:
      - .offset:         0
        .size:           4
        .value_kind:     by_value
      - .offset:         8
        .size:           352
        .value_kind:     by_value
    .group_segment_fixed_size: 0
    .kernarg_segment_align: 8
    .kernarg_segment_size: 360
    .language:       OpenCL C
    .language_version:
      - 2
      - 0
    .max_flat_workgroup_size: 128
    .name:           _ZN2at6native32elementwise_kernel_manual_unrollILi128ELi4EZNS0_15gpu_kernel_implIZZZNS0_12_GLOBAL__N_121bessel_y0_kernel_cudaERNS_18TensorIteratorBaseEENKUlvE_clEvENKUlvE_clEvEUldE_EEvS5_RKT_EUlibE0_EEviT1_
    .private_segment_fixed_size: 156
    .sgpr_count:     95
    .sgpr_spill_count: 0
    .symbol:         _ZN2at6native32elementwise_kernel_manual_unrollILi128ELi4EZNS0_15gpu_kernel_implIZZZNS0_12_GLOBAL__N_121bessel_y0_kernel_cudaERNS_18TensorIteratorBaseEENKUlvE_clEvENKUlvE_clEvEUldE_EEvS5_RKT_EUlibE0_EEviT1_.kd
    .uniform_work_group_size: 1
    .uses_dynamic_stack: false
    .vgpr_count:     64
    .vgpr_spill_count: 32
    .wavefront_size: 64
  - .args:
      - .offset:         0
        .size:           4
        .value_kind:     by_value
      - .offset:         4
        .size:           1
        .value_kind:     by_value
      - .offset:         8
        .size:           16
        .value_kind:     by_value
    .group_segment_fixed_size: 0
    .kernarg_segment_align: 8
    .kernarg_segment_size: 24
    .language:       OpenCL C
    .language_version:
      - 2
      - 0
    .max_flat_workgroup_size: 256
    .name:           _ZN2at6native29vectorized_elementwise_kernelILi16EZZZNS0_12_GLOBAL__N_121bessel_y0_kernel_cudaERNS_18TensorIteratorBaseEENKUlvE_clEvENKUlvE0_clEvEUlfE_St5arrayIPcLm2EEEEviT0_T1_
    .private_segment_fixed_size: 0
    .sgpr_count:     37
    .sgpr_spill_count: 0
    .symbol:         _ZN2at6native29vectorized_elementwise_kernelILi16EZZZNS0_12_GLOBAL__N_121bessel_y0_kernel_cudaERNS_18TensorIteratorBaseEENKUlvE_clEvENKUlvE0_clEvEUlfE_St5arrayIPcLm2EEEEviT0_T1_.kd
    .uniform_work_group_size: 1
    .uses_dynamic_stack: false
    .vgpr_count:     32
    .vgpr_spill_count: 0
    .wavefront_size: 64
  - .args:
      - .offset:         0
        .size:           4
        .value_kind:     by_value
      - .offset:         4
        .size:           1
        .value_kind:     by_value
      - .offset:         8
        .size:           16
        .value_kind:     by_value
    .group_segment_fixed_size: 0
    .kernarg_segment_align: 8
    .kernarg_segment_size: 24
    .language:       OpenCL C
    .language_version:
      - 2
      - 0
    .max_flat_workgroup_size: 256
    .name:           _ZN2at6native29vectorized_elementwise_kernelILi8EZZZNS0_12_GLOBAL__N_121bessel_y0_kernel_cudaERNS_18TensorIteratorBaseEENKUlvE_clEvENKUlvE0_clEvEUlfE_St5arrayIPcLm2EEEEviT0_T1_
    .private_segment_fixed_size: 0
    .sgpr_count:     37
    .sgpr_spill_count: 0
    .symbol:         _ZN2at6native29vectorized_elementwise_kernelILi8EZZZNS0_12_GLOBAL__N_121bessel_y0_kernel_cudaERNS_18TensorIteratorBaseEENKUlvE_clEvENKUlvE0_clEvEUlfE_St5arrayIPcLm2EEEEviT0_T1_.kd
    .uniform_work_group_size: 1
    .uses_dynamic_stack: false
    .vgpr_count:     32
    .vgpr_spill_count: 0
    .wavefront_size: 64
  - .args:
      - .offset:         0
        .size:           4
        .value_kind:     by_value
      - .offset:         4
        .size:           1
        .value_kind:     by_value
      - .offset:         8
        .size:           16
        .value_kind:     by_value
    .group_segment_fixed_size: 0
    .kernarg_segment_align: 8
    .kernarg_segment_size: 24
    .language:       OpenCL C
    .language_version:
      - 2
      - 0
    .max_flat_workgroup_size: 256
    .name:           _ZN2at6native29vectorized_elementwise_kernelILi4EZZZNS0_12_GLOBAL__N_121bessel_y0_kernel_cudaERNS_18TensorIteratorBaseEENKUlvE_clEvENKUlvE0_clEvEUlfE_St5arrayIPcLm2EEEEviT0_T1_
    .private_segment_fixed_size: 0
    .sgpr_count:     37
    .sgpr_spill_count: 0
    .symbol:         _ZN2at6native29vectorized_elementwise_kernelILi4EZZZNS0_12_GLOBAL__N_121bessel_y0_kernel_cudaERNS_18TensorIteratorBaseEENKUlvE_clEvENKUlvE0_clEvEUlfE_St5arrayIPcLm2EEEEviT0_T1_.kd
    .uniform_work_group_size: 1
    .uses_dynamic_stack: false
    .vgpr_count:     32
    .vgpr_spill_count: 0
    .wavefront_size: 64
  - .args:
      - .offset:         0
        .size:           4
        .value_kind:     by_value
      - .offset:         4
        .size:           1
        .value_kind:     by_value
      - .offset:         8
        .size:           16
        .value_kind:     by_value
    .group_segment_fixed_size: 0
    .kernarg_segment_align: 8
    .kernarg_segment_size: 24
    .language:       OpenCL C
    .language_version:
      - 2
      - 0
    .max_flat_workgroup_size: 256
    .name:           _ZN2at6native29vectorized_elementwise_kernelILi2EZZZNS0_12_GLOBAL__N_121bessel_y0_kernel_cudaERNS_18TensorIteratorBaseEENKUlvE_clEvENKUlvE0_clEvEUlfE_St5arrayIPcLm2EEEEviT0_T1_
    .private_segment_fixed_size: 0
    .sgpr_count:     37
    .sgpr_spill_count: 0
    .symbol:         _ZN2at6native29vectorized_elementwise_kernelILi2EZZZNS0_12_GLOBAL__N_121bessel_y0_kernel_cudaERNS_18TensorIteratorBaseEENKUlvE_clEvENKUlvE0_clEvEUlfE_St5arrayIPcLm2EEEEviT0_T1_.kd
    .uniform_work_group_size: 1
    .uses_dynamic_stack: false
    .vgpr_count:     40
    .vgpr_spill_count: 0
    .wavefront_size: 64
  - .args:
      - .offset:         0
        .size:           4
        .value_kind:     by_value
      - .offset:         4
        .size:           1
        .value_kind:     by_value
      - .offset:         8
        .size:           16
        .value_kind:     by_value
      - .offset:         24
        .size:           1
        .value_kind:     by_value
      - .offset:         25
        .size:           1
        .value_kind:     by_value
      - .offset:         26
        .size:           1
        .value_kind:     by_value
      - .offset:         27
        .size:           1
        .value_kind:     by_value
    .group_segment_fixed_size: 0
    .kernarg_segment_align: 8
    .kernarg_segment_size: 28
    .language:       OpenCL C
    .language_version:
      - 2
      - 0
    .max_flat_workgroup_size: 256
    .name:           _ZN2at6native27unrolled_elementwise_kernelIZZZNS0_12_GLOBAL__N_121bessel_y0_kernel_cudaERNS_18TensorIteratorBaseEENKUlvE_clEvENKUlvE0_clEvEUlfE_St5arrayIPcLm2EELi4E23TrivialOffsetCalculatorILi1EjESC_NS0_6memory15LoadWithoutCastENSD_16StoreWithoutCastEEEviT_T0_T2_T3_T4_T5_
    .private_segment_fixed_size: 0
    .sgpr_count:     37
    .sgpr_spill_count: 0
    .symbol:         _ZN2at6native27unrolled_elementwise_kernelIZZZNS0_12_GLOBAL__N_121bessel_y0_kernel_cudaERNS_18TensorIteratorBaseEENKUlvE_clEvENKUlvE0_clEvEUlfE_St5arrayIPcLm2EELi4E23TrivialOffsetCalculatorILi1EjESC_NS0_6memory15LoadWithoutCastENSD_16StoreWithoutCastEEEviT_T0_T2_T3_T4_T5_.kd
    .uniform_work_group_size: 1
    .uses_dynamic_stack: false
    .vgpr_count:     32
    .vgpr_spill_count: 0
    .wavefront_size: 64
  - .args:
      - .offset:         0
        .size:           4
        .value_kind:     by_value
      - .offset:         8
        .size:           352
        .value_kind:     by_value
    .group_segment_fixed_size: 0
    .kernarg_segment_align: 8
    .kernarg_segment_size: 360
    .language:       OpenCL C
    .language_version:
      - 2
      - 0
    .max_flat_workgroup_size: 128
    .name:           _ZN2at6native32elementwise_kernel_manual_unrollILi128ELi4EZNS0_22gpu_kernel_impl_nocastIZZZNS0_12_GLOBAL__N_121bessel_y0_kernel_cudaERNS_18TensorIteratorBaseEENKUlvE_clEvENKUlvE0_clEvEUlfE_EEvS5_RKT_EUlibE_EEviT1_
    .private_segment_fixed_size: 0
    .sgpr_count:     64
    .sgpr_spill_count: 0
    .symbol:         _ZN2at6native32elementwise_kernel_manual_unrollILi128ELi4EZNS0_22gpu_kernel_impl_nocastIZZZNS0_12_GLOBAL__N_121bessel_y0_kernel_cudaERNS_18TensorIteratorBaseEENKUlvE_clEvENKUlvE0_clEvEUlfE_EEvS5_RKT_EUlibE_EEviT1_.kd
    .uniform_work_group_size: 1
    .uses_dynamic_stack: false
    .vgpr_count:     42
    .vgpr_spill_count: 0
    .wavefront_size: 64
  - .args:
      - .offset:         0
        .size:           4
        .value_kind:     by_value
      - .offset:         8
        .size:           32
        .value_kind:     by_value
    .group_segment_fixed_size: 0
    .kernarg_segment_align: 8
    .kernarg_segment_size: 40
    .language:       OpenCL C
    .language_version:
      - 2
      - 0
    .max_flat_workgroup_size: 128
    .name:           _ZN2at6native32elementwise_kernel_manual_unrollILi128ELi4EZNS0_15gpu_kernel_implIZZZNS0_12_GLOBAL__N_121bessel_y0_kernel_cudaERNS_18TensorIteratorBaseEENKUlvE_clEvENKUlvE0_clEvEUlfE_EEvS5_RKT_EUlibE_EEviT1_
    .private_segment_fixed_size: 0
    .sgpr_count:     60
    .sgpr_spill_count: 0
    .symbol:         _ZN2at6native32elementwise_kernel_manual_unrollILi128ELi4EZNS0_15gpu_kernel_implIZZZNS0_12_GLOBAL__N_121bessel_y0_kernel_cudaERNS_18TensorIteratorBaseEENKUlvE_clEvENKUlvE0_clEvEUlfE_EEvS5_RKT_EUlibE_EEviT1_.kd
    .uniform_work_group_size: 1
    .uses_dynamic_stack: false
    .vgpr_count:     27
    .vgpr_spill_count: 0
    .wavefront_size: 64
  - .args:
      - .offset:         0
        .size:           4
        .value_kind:     by_value
      - .offset:         8
        .size:           352
        .value_kind:     by_value
    .group_segment_fixed_size: 0
    .kernarg_segment_align: 8
    .kernarg_segment_size: 360
    .language:       OpenCL C
    .language_version:
      - 2
      - 0
    .max_flat_workgroup_size: 128
    .name:           _ZN2at6native32elementwise_kernel_manual_unrollILi128ELi4EZNS0_15gpu_kernel_implIZZZNS0_12_GLOBAL__N_121bessel_y0_kernel_cudaERNS_18TensorIteratorBaseEENKUlvE_clEvENKUlvE0_clEvEUlfE_EEvS5_RKT_EUlibE0_EEviT1_
    .private_segment_fixed_size: 0
    .sgpr_count:     83
    .sgpr_spill_count: 0
    .symbol:         _ZN2at6native32elementwise_kernel_manual_unrollILi128ELi4EZNS0_15gpu_kernel_implIZZZNS0_12_GLOBAL__N_121bessel_y0_kernel_cudaERNS_18TensorIteratorBaseEENKUlvE_clEvENKUlvE0_clEvEUlfE_EEvS5_RKT_EUlibE0_EEviT1_.kd
    .uniform_work_group_size: 1
    .uses_dynamic_stack: false
    .vgpr_count:     34
    .vgpr_spill_count: 0
    .wavefront_size: 64
amdhsa.target:   amdgcn-amd-amdhsa--gfx906
amdhsa.version:
  - 1
  - 2
...

	.end_amdgpu_metadata
